;; amdgpu-corpus repo=ggml-org/llama.cpp kind=compiled arch=gfx906 opt=O3
	.amdgcn_target "amdgcn-amd-amdhsa--gfx906"
	.amdhsa_code_object_version 6
	.section	.text._ZL19k_bin_bcast_unravelIXadL_ZL9op_repeatffEEfffJEEvPKT0_PKT1_PT2_15HIP_vector_typeIjLj3EES9_S9_jS9_S9_S9_S9_S9_S9_iiiiiiiiiiiDpT3_,"axG",@progbits,_ZL19k_bin_bcast_unravelIXadL_ZL9op_repeatffEEfffJEEvPKT0_PKT1_PT2_15HIP_vector_typeIjLj3EES9_S9_jS9_S9_S9_S9_S9_S9_iiiiiiiiiiiDpT3_,comdat
	.globl	_ZL19k_bin_bcast_unravelIXadL_ZL9op_repeatffEEfffJEEvPKT0_PKT1_PT2_15HIP_vector_typeIjLj3EES9_S9_jS9_S9_S9_S9_S9_S9_iiiiiiiiiiiDpT3_ ; -- Begin function _ZL19k_bin_bcast_unravelIXadL_ZL9op_repeatffEEfffJEEvPKT0_PKT1_PT2_15HIP_vector_typeIjLj3EES9_S9_jS9_S9_S9_S9_S9_S9_iiiiiiiiiiiDpT3_
	.p2align	8
	.type	_ZL19k_bin_bcast_unravelIXadL_ZL9op_repeatffEEfffJEEvPKT0_PKT1_PT2_15HIP_vector_typeIjLj3EES9_S9_jS9_S9_S9_S9_S9_S9_iiiiiiiiiiiDpT3_,@function
_ZL19k_bin_bcast_unravelIXadL_ZL9op_repeatffEEfffJEEvPKT0_PKT1_PT2_15HIP_vector_typeIjLj3EES9_S9_jS9_S9_S9_S9_S9_S9_iiiiiiiiiiiDpT3_: ; @_ZL19k_bin_bcast_unravelIXadL_ZL9op_repeatffEEfffJEEvPKT0_PKT1_PT2_15HIP_vector_typeIjLj3EES9_S9_jS9_S9_S9_S9_S9_S9_iiiiiiiiiiiDpT3_
; %bb.0:
	s_load_dword s0, s[4:5], 0xc4
	s_load_dwordx8 s[8:15], s[4:5], 0x38
	s_waitcnt lgkmcnt(0)
	s_and_b32 s0, s0, 0xffff
	s_mul_i32 s6, s6, s0
	v_add_u32_e32 v0, s6, v0
	v_mul_hi_u32 v1, v0, s10
	s_load_dwordx4 s[0:3], s[4:5], 0x18
	s_waitcnt lgkmcnt(0)
	s_load_dword s3, s[4:5], 0x2c
	v_add_u32_e32 v1, v0, v1
	v_lshrrev_b32_e32 v1, s11, v1
	v_mul_lo_u32 v2, v1, s12
	v_sub_u32_e32 v0, v0, v2
	v_mul_hi_u32 v2, v0, s13
	v_add_u32_e32 v2, v0, v2
	v_lshrrev_b32_e32 v2, s14, v2
	v_mul_lo_u32 v3, v2, s15
	v_cmp_gt_u32_e32 vcc, s8, v2
	v_sub_u32_e32 v0, v0, v3
	v_mul_hi_u32 v3, v0, s0
	v_add_u32_e32 v3, v0, v3
	v_lshrrev_b32_e32 v3, s1, v3
	v_mul_lo_u32 v4, v3, s2
	s_waitcnt lgkmcnt(0)
	v_cmp_gt_u32_e64 s[0:1], s3, v3
	v_sub_u32_e32 v0, v0, v4
	v_cmp_gt_u32_e64 s[2:3], s2, v0
	s_and_b64 s[0:1], s[2:3], s[0:1]
	s_and_b64 s[0:1], s[0:1], vcc
	v_cmp_gt_u32_e32 vcc, s9, v1
	s_and_b64 s[0:1], vcc, s[0:1]
	s_and_saveexec_b64 s[2:3], s[0:1]
	s_cbranch_execz .LBB0_2
; %bb.1:
	s_load_dwordx8 s[16:23], s[4:5], 0x58
	s_load_dwordx8 s[8:15], s[4:5], 0x78
	s_load_dwordx4 s[0:3], s[4:5], 0xa4
	s_waitcnt lgkmcnt(0)
	v_mul_hi_u32 v4, s19, v3
	v_mul_hi_u32 v5, s22, v2
	;; [unrolled: 1-line block ×4, first 2 shown]
	v_add_u32_e32 v4, v3, v4
	v_add_u32_e32 v5, v2, v5
	;; [unrolled: 1-line block ×3, first 2 shown]
	v_lshrrev_b32_e32 v4, s20, v4
	v_lshrrev_b32_e32 v5, s23, v5
	;; [unrolled: 1-line block ×3, first 2 shown]
	v_mul_lo_u32 v4, v4, s21
	v_mul_lo_u32 v5, v5, s8
	;; [unrolled: 1-line block ×3, first 2 shown]
	v_add_u32_e32 v7, v0, v7
	v_lshrrev_b32_e32 v7, s17, v7
	v_mul_lo_u32 v7, v7, s18
	v_sub_u32_e32 v4, v3, v4
	v_sub_u32_e32 v5, v2, v5
	;; [unrolled: 1-line block ×3, first 2 shown]
	v_mul_lo_u32 v6, v6, s3
	v_mul_lo_u32 v5, v5, s2
	v_mul_lo_u32 v8, v4, s1
	v_sub_u32_e32 v4, v0, v7
	v_mul_lo_u32 v4, v4, s0
	s_load_dwordx4 s[0:3], s[4:5], 0x8
	v_add3_u32 v6, v5, v6, v8
	v_ashrrev_i32_e32 v7, 31, v6
	v_lshlrev_b64 v[6:7], 2, v[6:7]
	v_ashrrev_i32_e32 v5, 31, v4
	s_waitcnt lgkmcnt(0)
	v_mov_b32_e32 v8, s1
	v_add_co_u32_e32 v6, vcc, s0, v6
	v_lshlrev_b64 v[4:5], 2, v[4:5]
	v_addc_co_u32_e32 v7, vcc, v8, v7, vcc
	v_add_co_u32_e32 v4, vcc, v6, v4
	v_addc_co_u32_e32 v5, vcc, v7, v5, vcc
	global_load_dword v5, v[4:5], off
	v_mul_lo_u32 v1, v1, s14
	v_mul_lo_u32 v2, v2, s13
	;; [unrolled: 1-line block ×3, first 2 shown]
	v_add3_u32 v1, v2, v1, v3
	v_mov_b32_e32 v2, 0
	v_lshlrev_b64 v[3:4], 2, v[1:2]
	v_mov_b32_e32 v1, s3
	v_add_co_u32_e32 v3, vcc, s2, v3
	v_addc_co_u32_e32 v4, vcc, v1, v4, vcc
	v_mov_b32_e32 v1, v2
	v_lshlrev_b64 v[0:1], 2, v[0:1]
	v_add_co_u32_e32 v0, vcc, v3, v0
	v_addc_co_u32_e32 v1, vcc, v4, v1, vcc
	s_waitcnt vmcnt(0)
	global_store_dword v[0:1], v5, off
.LBB0_2:
	s_endpgm
	.section	.rodata,"a",@progbits
	.p2align	6, 0x0
	.amdhsa_kernel _ZL19k_bin_bcast_unravelIXadL_ZL9op_repeatffEEfffJEEvPKT0_PKT1_PT2_15HIP_vector_typeIjLj3EES9_S9_jS9_S9_S9_S9_S9_S9_iiiiiiiiiiiDpT3_
		.amdhsa_group_segment_fixed_size 0
		.amdhsa_private_segment_fixed_size 0
		.amdhsa_kernarg_size 440
		.amdhsa_user_sgpr_count 6
		.amdhsa_user_sgpr_private_segment_buffer 1
		.amdhsa_user_sgpr_dispatch_ptr 0
		.amdhsa_user_sgpr_queue_ptr 0
		.amdhsa_user_sgpr_kernarg_segment_ptr 1
		.amdhsa_user_sgpr_dispatch_id 0
		.amdhsa_user_sgpr_flat_scratch_init 0
		.amdhsa_user_sgpr_private_segment_size 0
		.amdhsa_uses_dynamic_stack 0
		.amdhsa_system_sgpr_private_segment_wavefront_offset 0
		.amdhsa_system_sgpr_workgroup_id_x 1
		.amdhsa_system_sgpr_workgroup_id_y 0
		.amdhsa_system_sgpr_workgroup_id_z 0
		.amdhsa_system_sgpr_workgroup_info 0
		.amdhsa_system_vgpr_workitem_id 0
		.amdhsa_next_free_vgpr 9
		.amdhsa_next_free_sgpr 24
		.amdhsa_reserve_vcc 1
		.amdhsa_reserve_flat_scratch 0
		.amdhsa_float_round_mode_32 0
		.amdhsa_float_round_mode_16_64 0
		.amdhsa_float_denorm_mode_32 3
		.amdhsa_float_denorm_mode_16_64 3
		.amdhsa_dx10_clamp 1
		.amdhsa_ieee_mode 1
		.amdhsa_fp16_overflow 0
		.amdhsa_exception_fp_ieee_invalid_op 0
		.amdhsa_exception_fp_denorm_src 0
		.amdhsa_exception_fp_ieee_div_zero 0
		.amdhsa_exception_fp_ieee_overflow 0
		.amdhsa_exception_fp_ieee_underflow 0
		.amdhsa_exception_fp_ieee_inexact 0
		.amdhsa_exception_int_div_zero 0
	.end_amdhsa_kernel
	.section	.text._ZL19k_bin_bcast_unravelIXadL_ZL9op_repeatffEEfffJEEvPKT0_PKT1_PT2_15HIP_vector_typeIjLj3EES9_S9_jS9_S9_S9_S9_S9_S9_iiiiiiiiiiiDpT3_,"axG",@progbits,_ZL19k_bin_bcast_unravelIXadL_ZL9op_repeatffEEfffJEEvPKT0_PKT1_PT2_15HIP_vector_typeIjLj3EES9_S9_jS9_S9_S9_S9_S9_S9_iiiiiiiiiiiDpT3_,comdat
.Lfunc_end0:
	.size	_ZL19k_bin_bcast_unravelIXadL_ZL9op_repeatffEEfffJEEvPKT0_PKT1_PT2_15HIP_vector_typeIjLj3EES9_S9_jS9_S9_S9_S9_S9_S9_iiiiiiiiiiiDpT3_, .Lfunc_end0-_ZL19k_bin_bcast_unravelIXadL_ZL9op_repeatffEEfffJEEvPKT0_PKT1_PT2_15HIP_vector_typeIjLj3EES9_S9_jS9_S9_S9_S9_S9_S9_iiiiiiiiiiiDpT3_
                                        ; -- End function
	.set _ZL19k_bin_bcast_unravelIXadL_ZL9op_repeatffEEfffJEEvPKT0_PKT1_PT2_15HIP_vector_typeIjLj3EES9_S9_jS9_S9_S9_S9_S9_S9_iiiiiiiiiiiDpT3_.num_vgpr, 9
	.set _ZL19k_bin_bcast_unravelIXadL_ZL9op_repeatffEEfffJEEvPKT0_PKT1_PT2_15HIP_vector_typeIjLj3EES9_S9_jS9_S9_S9_S9_S9_S9_iiiiiiiiiiiDpT3_.num_agpr, 0
	.set _ZL19k_bin_bcast_unravelIXadL_ZL9op_repeatffEEfffJEEvPKT0_PKT1_PT2_15HIP_vector_typeIjLj3EES9_S9_jS9_S9_S9_S9_S9_S9_iiiiiiiiiiiDpT3_.numbered_sgpr, 24
	.set _ZL19k_bin_bcast_unravelIXadL_ZL9op_repeatffEEfffJEEvPKT0_PKT1_PT2_15HIP_vector_typeIjLj3EES9_S9_jS9_S9_S9_S9_S9_S9_iiiiiiiiiiiDpT3_.num_named_barrier, 0
	.set _ZL19k_bin_bcast_unravelIXadL_ZL9op_repeatffEEfffJEEvPKT0_PKT1_PT2_15HIP_vector_typeIjLj3EES9_S9_jS9_S9_S9_S9_S9_S9_iiiiiiiiiiiDpT3_.private_seg_size, 0
	.set _ZL19k_bin_bcast_unravelIXadL_ZL9op_repeatffEEfffJEEvPKT0_PKT1_PT2_15HIP_vector_typeIjLj3EES9_S9_jS9_S9_S9_S9_S9_S9_iiiiiiiiiiiDpT3_.uses_vcc, 1
	.set _ZL19k_bin_bcast_unravelIXadL_ZL9op_repeatffEEfffJEEvPKT0_PKT1_PT2_15HIP_vector_typeIjLj3EES9_S9_jS9_S9_S9_S9_S9_S9_iiiiiiiiiiiDpT3_.uses_flat_scratch, 0
	.set _ZL19k_bin_bcast_unravelIXadL_ZL9op_repeatffEEfffJEEvPKT0_PKT1_PT2_15HIP_vector_typeIjLj3EES9_S9_jS9_S9_S9_S9_S9_S9_iiiiiiiiiiiDpT3_.has_dyn_sized_stack, 0
	.set _ZL19k_bin_bcast_unravelIXadL_ZL9op_repeatffEEfffJEEvPKT0_PKT1_PT2_15HIP_vector_typeIjLj3EES9_S9_jS9_S9_S9_S9_S9_S9_iiiiiiiiiiiDpT3_.has_recursion, 0
	.set _ZL19k_bin_bcast_unravelIXadL_ZL9op_repeatffEEfffJEEvPKT0_PKT1_PT2_15HIP_vector_typeIjLj3EES9_S9_jS9_S9_S9_S9_S9_S9_iiiiiiiiiiiDpT3_.has_indirect_call, 0
	.section	.AMDGPU.csdata,"",@progbits
; Kernel info:
; codeLenInByte = 524
; TotalNumSgprs: 28
; NumVgprs: 9
; ScratchSize: 0
; MemoryBound: 0
; FloatMode: 240
; IeeeMode: 1
; LDSByteSize: 0 bytes/workgroup (compile time only)
; SGPRBlocks: 3
; VGPRBlocks: 2
; NumSGPRsForWavesPerEU: 28
; NumVGPRsForWavesPerEU: 9
; Occupancy: 10
; WaveLimiterHint : 1
; COMPUTE_PGM_RSRC2:SCRATCH_EN: 0
; COMPUTE_PGM_RSRC2:USER_SGPR: 6
; COMPUTE_PGM_RSRC2:TRAP_HANDLER: 0
; COMPUTE_PGM_RSRC2:TGID_X_EN: 1
; COMPUTE_PGM_RSRC2:TGID_Y_EN: 0
; COMPUTE_PGM_RSRC2:TGID_Z_EN: 0
; COMPUTE_PGM_RSRC2:TIDIG_COMP_CNT: 0
	.section	.text._ZL11k_bin_bcastIXadL_ZL9op_repeatffEEfffJEEvPKT0_PKT1_PT2_iii15HIP_vector_typeIjLj3EES9_S9_S9_S9_iiiiiiiiiiiDpT3_,"axG",@progbits,_ZL11k_bin_bcastIXadL_ZL9op_repeatffEEfffJEEvPKT0_PKT1_PT2_iii15HIP_vector_typeIjLj3EES9_S9_S9_S9_iiiiiiiiiiiDpT3_,comdat
	.globl	_ZL11k_bin_bcastIXadL_ZL9op_repeatffEEfffJEEvPKT0_PKT1_PT2_iii15HIP_vector_typeIjLj3EES9_S9_S9_S9_iiiiiiiiiiiDpT3_ ; -- Begin function _ZL11k_bin_bcastIXadL_ZL9op_repeatffEEfffJEEvPKT0_PKT1_PT2_iii15HIP_vector_typeIjLj3EES9_S9_S9_S9_iiiiiiiiiiiDpT3_
	.p2align	8
	.type	_ZL11k_bin_bcastIXadL_ZL9op_repeatffEEfffJEEvPKT0_PKT1_PT2_iii15HIP_vector_typeIjLj3EES9_S9_S9_S9_iiiiiiiiiiiDpT3_,@function
_ZL11k_bin_bcastIXadL_ZL9op_repeatffEEfffJEEvPKT0_PKT1_PT2_iii15HIP_vector_typeIjLj3EES9_S9_S9_S9_iiiiiiiiiiiDpT3_: ; @_ZL11k_bin_bcastIXadL_ZL9op_repeatffEEfffJEEvPKT0_PKT1_PT2_iii15HIP_vector_typeIjLj3EES9_S9_S9_S9_iiiiiiiiiiiDpT3_
; %bb.0:
	s_load_dwordx2 s[0:1], s[4:5], 0x9c
	s_load_dwordx8 s[12:19], s[4:5], 0x18
	s_add_u32 s2, s4, 0x90
	s_addc_u32 s3, s5, 0
	s_waitcnt lgkmcnt(0)
	s_and_b32 s1, s1, 0xffff
	s_mul_i32 s8, s8, s1
	v_add_u32_e32 v2, s8, v2
	v_mul_hi_u32 v3, v2, s15
	s_lshr_b32 s1, s0, 16
	s_and_b32 s15, s0, 0xffff
	s_mul_i32 s6, s6, s15
	v_add_u32_e32 v3, v2, v3
	v_lshrrev_b32_e32 v5, s16, v3
	v_mul_lo_u32 v4, v5, s17
	s_mul_i32 s7, s7, s1
	v_add_u32_e32 v0, s6, v0
	v_add_u32_e32 v3, s7, v1
	v_cmp_gt_u32_e32 vcc, s12, v0
	v_cmp_gt_u32_e64 s[0:1], s13, v3
	v_sub_u32_e32 v4, v2, v4
	s_and_b64 s[0:1], vcc, s[0:1]
	v_cmp_gt_u32_e32 vcc, s14, v5
	s_and_b64 s[0:1], s[0:1], vcc
	v_cmp_gt_u32_e32 vcc, s17, v4
	s_and_b64 s[0:1], s[0:1], vcc
	s_and_saveexec_b64 s[6:7], s[0:1]
	s_cbranch_execz .LBB1_4
; %bb.1:
	v_cmp_gt_i32_e32 vcc, s12, v0
	s_and_b64 exec, exec, vcc
	s_cbranch_execz .LBB1_4
; %bb.2:
	s_load_dwordx4 s[8:11], s[4:5], 0x60
	s_load_dwordx8 s[20:27], s[4:5], 0x3c
	s_load_dword s0, s[4:5], 0x5c
	s_load_dword s1, s[4:5], 0x38
	s_load_dwordx4 s[28:31], s[4:5], 0x8
	s_load_dword s6, s[2:3], 0x0
	s_mov_b64 s[2:3], 0
	s_waitcnt lgkmcnt(0)
	v_mul_lo_u32 v1, v4, s10
	v_mul_lo_u32 v2, v5, s9
	;; [unrolled: 1-line block ×3, first 2 shown]
	v_mul_hi_u32 v8, s23, v5
	v_mul_hi_u32 v9, s26, v4
	s_load_dwordx4 s[8:11], s[4:5], 0x7c
	v_add3_u32 v1, v2, v6, v1
	v_mov_b32_e32 v2, 0
	v_lshlrev_b64 v[6:7], 2, v[1:2]
	v_add_u32_e32 v1, v5, v8
	v_lshrrev_b32_e32 v1, s24, v1
	v_mul_lo_u32 v1, v1, s25
	v_add_u32_e32 v9, v4, v9
	v_lshrrev_b32_e32 v9, s27, v9
	v_mul_lo_u32 v9, v9, s0
	v_sub_u32_e32 v1, v5, v1
	v_mul_hi_u32 v5, s20, v3
	s_waitcnt lgkmcnt(0)
	v_mul_lo_u32 v1, v1, s10
	v_sub_u32_e32 v4, v4, v9
	v_mul_lo_u32 v9, v4, s11
	v_add_u32_e32 v5, v3, v5
	v_lshrrev_b32_e32 v5, s21, v5
	v_mul_lo_u32 v5, v5, s22
	v_mov_b32_e32 v8, s31
	s_mul_i32 s4, s6, s15
	s_sub_i32 s5, 0, s1
	v_sub_u32_e32 v3, v3, v5
	v_mul_lo_u32 v5, v3, s9
	v_add_co_u32_e32 v3, vcc, s30, v6
	v_addc_co_u32_e32 v4, vcc, v8, v7, vcc
	v_add3_u32 v1, v1, v9, v5
	v_lshlrev_b64 v[5:6], 2, v[1:2]
	v_mov_b32_e32 v1, s29
	v_add_co_u32_e32 v5, vcc, s28, v5
	v_addc_co_u32_e32 v6, vcc, v1, v6, vcc
.LBB1_3:                                ; =>This Inner Loop Header: Depth=1
	v_mul_hi_u32 v1, s18, v0
	v_add_u32_e32 v1, v0, v1
	v_lshrrev_b32_e32 v1, s19, v1
	v_mad_u64_u32 v[7:8], s[0:1], s5, v1, v[0:1]
	v_mul_lo_u32 v1, v7, s8
	v_lshlrev_b64 v[7:8], 2, v[1:2]
	v_ashrrev_i32_e32 v1, 31, v0
	v_add_co_u32_e32 v7, vcc, v5, v7
	v_addc_co_u32_e32 v8, vcc, v6, v8, vcc
	global_load_dword v9, v[7:8], off
	v_lshlrev_b64 v[7:8], 2, v[0:1]
	v_add_u32_e32 v0, s4, v0
	v_cmp_le_i32_e32 vcc, s12, v0
	v_add_co_u32_e64 v7, s[0:1], v3, v7
	v_addc_co_u32_e64 v8, s[0:1], v4, v8, s[0:1]
	s_or_b64 s[2:3], vcc, s[2:3]
	s_waitcnt vmcnt(0)
	global_store_dword v[7:8], v9, off
	s_andn2_b64 exec, exec, s[2:3]
	s_cbranch_execnz .LBB1_3
.LBB1_4:
	s_endpgm
	.section	.rodata,"a",@progbits
	.p2align	6, 0x0
	.amdhsa_kernel _ZL11k_bin_bcastIXadL_ZL9op_repeatffEEfffJEEvPKT0_PKT1_PT2_iii15HIP_vector_typeIjLj3EES9_S9_S9_S9_iiiiiiiiiiiDpT3_
		.amdhsa_group_segment_fixed_size 0
		.amdhsa_private_segment_fixed_size 0
		.amdhsa_kernarg_size 400
		.amdhsa_user_sgpr_count 6
		.amdhsa_user_sgpr_private_segment_buffer 1
		.amdhsa_user_sgpr_dispatch_ptr 0
		.amdhsa_user_sgpr_queue_ptr 0
		.amdhsa_user_sgpr_kernarg_segment_ptr 1
		.amdhsa_user_sgpr_dispatch_id 0
		.amdhsa_user_sgpr_flat_scratch_init 0
		.amdhsa_user_sgpr_private_segment_size 0
		.amdhsa_uses_dynamic_stack 0
		.amdhsa_system_sgpr_private_segment_wavefront_offset 0
		.amdhsa_system_sgpr_workgroup_id_x 1
		.amdhsa_system_sgpr_workgroup_id_y 1
		.amdhsa_system_sgpr_workgroup_id_z 1
		.amdhsa_system_sgpr_workgroup_info 0
		.amdhsa_system_vgpr_workitem_id 2
		.amdhsa_next_free_vgpr 10
		.amdhsa_next_free_sgpr 32
		.amdhsa_reserve_vcc 1
		.amdhsa_reserve_flat_scratch 0
		.amdhsa_float_round_mode_32 0
		.amdhsa_float_round_mode_16_64 0
		.amdhsa_float_denorm_mode_32 3
		.amdhsa_float_denorm_mode_16_64 3
		.amdhsa_dx10_clamp 1
		.amdhsa_ieee_mode 1
		.amdhsa_fp16_overflow 0
		.amdhsa_exception_fp_ieee_invalid_op 0
		.amdhsa_exception_fp_denorm_src 0
		.amdhsa_exception_fp_ieee_div_zero 0
		.amdhsa_exception_fp_ieee_overflow 0
		.amdhsa_exception_fp_ieee_underflow 0
		.amdhsa_exception_fp_ieee_inexact 0
		.amdhsa_exception_int_div_zero 0
	.end_amdhsa_kernel
	.section	.text._ZL11k_bin_bcastIXadL_ZL9op_repeatffEEfffJEEvPKT0_PKT1_PT2_iii15HIP_vector_typeIjLj3EES9_S9_S9_S9_iiiiiiiiiiiDpT3_,"axG",@progbits,_ZL11k_bin_bcastIXadL_ZL9op_repeatffEEfffJEEvPKT0_PKT1_PT2_iii15HIP_vector_typeIjLj3EES9_S9_S9_S9_iiiiiiiiiiiDpT3_,comdat
.Lfunc_end1:
	.size	_ZL11k_bin_bcastIXadL_ZL9op_repeatffEEfffJEEvPKT0_PKT1_PT2_iii15HIP_vector_typeIjLj3EES9_S9_S9_S9_iiiiiiiiiiiDpT3_, .Lfunc_end1-_ZL11k_bin_bcastIXadL_ZL9op_repeatffEEfffJEEvPKT0_PKT1_PT2_iii15HIP_vector_typeIjLj3EES9_S9_S9_S9_iiiiiiiiiiiDpT3_
                                        ; -- End function
	.set _ZL11k_bin_bcastIXadL_ZL9op_repeatffEEfffJEEvPKT0_PKT1_PT2_iii15HIP_vector_typeIjLj3EES9_S9_S9_S9_iiiiiiiiiiiDpT3_.num_vgpr, 10
	.set _ZL11k_bin_bcastIXadL_ZL9op_repeatffEEfffJEEvPKT0_PKT1_PT2_iii15HIP_vector_typeIjLj3EES9_S9_S9_S9_iiiiiiiiiiiDpT3_.num_agpr, 0
	.set _ZL11k_bin_bcastIXadL_ZL9op_repeatffEEfffJEEvPKT0_PKT1_PT2_iii15HIP_vector_typeIjLj3EES9_S9_S9_S9_iiiiiiiiiiiDpT3_.numbered_sgpr, 32
	.set _ZL11k_bin_bcastIXadL_ZL9op_repeatffEEfffJEEvPKT0_PKT1_PT2_iii15HIP_vector_typeIjLj3EES9_S9_S9_S9_iiiiiiiiiiiDpT3_.num_named_barrier, 0
	.set _ZL11k_bin_bcastIXadL_ZL9op_repeatffEEfffJEEvPKT0_PKT1_PT2_iii15HIP_vector_typeIjLj3EES9_S9_S9_S9_iiiiiiiiiiiDpT3_.private_seg_size, 0
	.set _ZL11k_bin_bcastIXadL_ZL9op_repeatffEEfffJEEvPKT0_PKT1_PT2_iii15HIP_vector_typeIjLj3EES9_S9_S9_S9_iiiiiiiiiiiDpT3_.uses_vcc, 1
	.set _ZL11k_bin_bcastIXadL_ZL9op_repeatffEEfffJEEvPKT0_PKT1_PT2_iii15HIP_vector_typeIjLj3EES9_S9_S9_S9_iiiiiiiiiiiDpT3_.uses_flat_scratch, 0
	.set _ZL11k_bin_bcastIXadL_ZL9op_repeatffEEfffJEEvPKT0_PKT1_PT2_iii15HIP_vector_typeIjLj3EES9_S9_S9_S9_iiiiiiiiiiiDpT3_.has_dyn_sized_stack, 0
	.set _ZL11k_bin_bcastIXadL_ZL9op_repeatffEEfffJEEvPKT0_PKT1_PT2_iii15HIP_vector_typeIjLj3EES9_S9_S9_S9_iiiiiiiiiiiDpT3_.has_recursion, 0
	.set _ZL11k_bin_bcastIXadL_ZL9op_repeatffEEfffJEEvPKT0_PKT1_PT2_iii15HIP_vector_typeIjLj3EES9_S9_S9_S9_iiiiiiiiiiiDpT3_.has_indirect_call, 0
	.section	.AMDGPU.csdata,"",@progbits
; Kernel info:
; codeLenInByte = 544
; TotalNumSgprs: 36
; NumVgprs: 10
; ScratchSize: 0
; MemoryBound: 0
; FloatMode: 240
; IeeeMode: 1
; LDSByteSize: 0 bytes/workgroup (compile time only)
; SGPRBlocks: 4
; VGPRBlocks: 2
; NumSGPRsForWavesPerEU: 36
; NumVGPRsForWavesPerEU: 10
; Occupancy: 10
; WaveLimiterHint : 1
; COMPUTE_PGM_RSRC2:SCRATCH_EN: 0
; COMPUTE_PGM_RSRC2:USER_SGPR: 6
; COMPUTE_PGM_RSRC2:TRAP_HANDLER: 0
; COMPUTE_PGM_RSRC2:TGID_X_EN: 1
; COMPUTE_PGM_RSRC2:TGID_Y_EN: 1
; COMPUTE_PGM_RSRC2:TGID_Z_EN: 1
; COMPUTE_PGM_RSRC2:TIDIG_COMP_CNT: 2
	.section	.text._ZL19k_bin_bcast_unravelIXadL_ZL9op_repeatffEE6__halfS0_S0_JEEvPKT0_PKT1_PT2_15HIP_vector_typeIjLj3EESA_SA_jSA_SA_SA_SA_SA_SA_iiiiiiiiiiiDpT3_,"axG",@progbits,_ZL19k_bin_bcast_unravelIXadL_ZL9op_repeatffEE6__halfS0_S0_JEEvPKT0_PKT1_PT2_15HIP_vector_typeIjLj3EESA_SA_jSA_SA_SA_SA_SA_SA_iiiiiiiiiiiDpT3_,comdat
	.globl	_ZL19k_bin_bcast_unravelIXadL_ZL9op_repeatffEE6__halfS0_S0_JEEvPKT0_PKT1_PT2_15HIP_vector_typeIjLj3EESA_SA_jSA_SA_SA_SA_SA_SA_iiiiiiiiiiiDpT3_ ; -- Begin function _ZL19k_bin_bcast_unravelIXadL_ZL9op_repeatffEE6__halfS0_S0_JEEvPKT0_PKT1_PT2_15HIP_vector_typeIjLj3EESA_SA_jSA_SA_SA_SA_SA_SA_iiiiiiiiiiiDpT3_
	.p2align	8
	.type	_ZL19k_bin_bcast_unravelIXadL_ZL9op_repeatffEE6__halfS0_S0_JEEvPKT0_PKT1_PT2_15HIP_vector_typeIjLj3EESA_SA_jSA_SA_SA_SA_SA_SA_iiiiiiiiiiiDpT3_,@function
_ZL19k_bin_bcast_unravelIXadL_ZL9op_repeatffEE6__halfS0_S0_JEEvPKT0_PKT1_PT2_15HIP_vector_typeIjLj3EESA_SA_jSA_SA_SA_SA_SA_SA_iiiiiiiiiiiDpT3_: ; @_ZL19k_bin_bcast_unravelIXadL_ZL9op_repeatffEE6__halfS0_S0_JEEvPKT0_PKT1_PT2_15HIP_vector_typeIjLj3EESA_SA_jSA_SA_SA_SA_SA_SA_iiiiiiiiiiiDpT3_
; %bb.0:
	s_load_dword s0, s[4:5], 0xc4
	s_load_dwordx8 s[8:15], s[4:5], 0x38
	s_waitcnt lgkmcnt(0)
	s_and_b32 s0, s0, 0xffff
	s_mul_i32 s6, s6, s0
	v_add_u32_e32 v0, s6, v0
	v_mul_hi_u32 v1, v0, s10
	s_load_dwordx4 s[0:3], s[4:5], 0x18
	s_waitcnt lgkmcnt(0)
	s_load_dword s3, s[4:5], 0x2c
	v_add_u32_e32 v1, v0, v1
	v_lshrrev_b32_e32 v1, s11, v1
	v_mul_lo_u32 v2, v1, s12
	v_sub_u32_e32 v0, v0, v2
	v_mul_hi_u32 v2, v0, s13
	v_add_u32_e32 v2, v0, v2
	v_lshrrev_b32_e32 v2, s14, v2
	v_mul_lo_u32 v3, v2, s15
	v_cmp_gt_u32_e32 vcc, s8, v2
	v_sub_u32_e32 v0, v0, v3
	v_mul_hi_u32 v3, v0, s0
	v_add_u32_e32 v3, v0, v3
	v_lshrrev_b32_e32 v3, s1, v3
	v_mul_lo_u32 v4, v3, s2
	s_waitcnt lgkmcnt(0)
	v_cmp_gt_u32_e64 s[0:1], s3, v3
	v_sub_u32_e32 v0, v0, v4
	v_cmp_gt_u32_e64 s[2:3], s2, v0
	s_and_b64 s[0:1], s[2:3], s[0:1]
	s_and_b64 s[0:1], s[0:1], vcc
	v_cmp_gt_u32_e32 vcc, s9, v1
	s_and_b64 s[0:1], vcc, s[0:1]
	s_and_saveexec_b64 s[2:3], s[0:1]
	s_cbranch_execz .LBB2_2
; %bb.1:
	s_load_dwordx8 s[16:23], s[4:5], 0x58
	s_load_dwordx8 s[8:15], s[4:5], 0x78
	s_load_dwordx4 s[0:3], s[4:5], 0xa4
	s_waitcnt lgkmcnt(0)
	v_mul_hi_u32 v4, s19, v3
	v_mul_hi_u32 v5, s22, v2
	;; [unrolled: 1-line block ×4, first 2 shown]
	v_add_u32_e32 v4, v3, v4
	v_add_u32_e32 v5, v2, v5
	;; [unrolled: 1-line block ×3, first 2 shown]
	v_lshrrev_b32_e32 v4, s20, v4
	v_lshrrev_b32_e32 v5, s23, v5
	v_lshrrev_b32_e32 v6, s10, v6
	v_mul_lo_u32 v4, v4, s21
	v_mul_lo_u32 v5, v5, s8
	;; [unrolled: 1-line block ×3, first 2 shown]
	v_add_u32_e32 v7, v0, v7
	v_lshrrev_b32_e32 v7, s17, v7
	v_mul_lo_u32 v7, v7, s18
	v_sub_u32_e32 v4, v3, v4
	v_sub_u32_e32 v5, v2, v5
	v_sub_u32_e32 v6, v1, v6
	v_mul_lo_u32 v6, v6, s3
	v_mul_lo_u32 v5, v5, s2
	;; [unrolled: 1-line block ×3, first 2 shown]
	v_sub_u32_e32 v4, v0, v7
	v_mul_lo_u32 v4, v4, s0
	s_load_dwordx4 s[0:3], s[4:5], 0x8
	v_add3_u32 v6, v5, v6, v8
	v_ashrrev_i32_e32 v7, 31, v6
	v_lshlrev_b64 v[6:7], 1, v[6:7]
	v_ashrrev_i32_e32 v5, 31, v4
	s_waitcnt lgkmcnt(0)
	v_mov_b32_e32 v8, s1
	v_add_co_u32_e32 v6, vcc, s0, v6
	v_lshlrev_b64 v[4:5], 1, v[4:5]
	v_addc_co_u32_e32 v7, vcc, v8, v7, vcc
	v_add_co_u32_e32 v4, vcc, v6, v4
	v_addc_co_u32_e32 v5, vcc, v7, v5, vcc
	global_load_ushort v5, v[4:5], off
	v_mul_lo_u32 v1, v1, s14
	v_mul_lo_u32 v2, v2, s13
	v_mul_lo_u32 v3, v3, s12
	v_add3_u32 v1, v2, v1, v3
	v_mov_b32_e32 v2, 0
	v_lshlrev_b64 v[3:4], 1, v[1:2]
	v_mov_b32_e32 v1, s3
	v_add_co_u32_e32 v3, vcc, s2, v3
	v_addc_co_u32_e32 v4, vcc, v1, v4, vcc
	v_mov_b32_e32 v1, v2
	v_lshlrev_b64 v[0:1], 1, v[0:1]
	v_add_co_u32_e32 v0, vcc, v3, v0
	v_addc_co_u32_e32 v1, vcc, v4, v1, vcc
	s_waitcnt vmcnt(0)
	global_store_short v[0:1], v5, off
.LBB2_2:
	s_endpgm
	.section	.rodata,"a",@progbits
	.p2align	6, 0x0
	.amdhsa_kernel _ZL19k_bin_bcast_unravelIXadL_ZL9op_repeatffEE6__halfS0_S0_JEEvPKT0_PKT1_PT2_15HIP_vector_typeIjLj3EESA_SA_jSA_SA_SA_SA_SA_SA_iiiiiiiiiiiDpT3_
		.amdhsa_group_segment_fixed_size 0
		.amdhsa_private_segment_fixed_size 0
		.amdhsa_kernarg_size 440
		.amdhsa_user_sgpr_count 6
		.amdhsa_user_sgpr_private_segment_buffer 1
		.amdhsa_user_sgpr_dispatch_ptr 0
		.amdhsa_user_sgpr_queue_ptr 0
		.amdhsa_user_sgpr_kernarg_segment_ptr 1
		.amdhsa_user_sgpr_dispatch_id 0
		.amdhsa_user_sgpr_flat_scratch_init 0
		.amdhsa_user_sgpr_private_segment_size 0
		.amdhsa_uses_dynamic_stack 0
		.amdhsa_system_sgpr_private_segment_wavefront_offset 0
		.amdhsa_system_sgpr_workgroup_id_x 1
		.amdhsa_system_sgpr_workgroup_id_y 0
		.amdhsa_system_sgpr_workgroup_id_z 0
		.amdhsa_system_sgpr_workgroup_info 0
		.amdhsa_system_vgpr_workitem_id 0
		.amdhsa_next_free_vgpr 9
		.amdhsa_next_free_sgpr 24
		.amdhsa_reserve_vcc 1
		.amdhsa_reserve_flat_scratch 0
		.amdhsa_float_round_mode_32 0
		.amdhsa_float_round_mode_16_64 0
		.amdhsa_float_denorm_mode_32 3
		.amdhsa_float_denorm_mode_16_64 3
		.amdhsa_dx10_clamp 1
		.amdhsa_ieee_mode 1
		.amdhsa_fp16_overflow 0
		.amdhsa_exception_fp_ieee_invalid_op 0
		.amdhsa_exception_fp_denorm_src 0
		.amdhsa_exception_fp_ieee_div_zero 0
		.amdhsa_exception_fp_ieee_overflow 0
		.amdhsa_exception_fp_ieee_underflow 0
		.amdhsa_exception_fp_ieee_inexact 0
		.amdhsa_exception_int_div_zero 0
	.end_amdhsa_kernel
	.section	.text._ZL19k_bin_bcast_unravelIXadL_ZL9op_repeatffEE6__halfS0_S0_JEEvPKT0_PKT1_PT2_15HIP_vector_typeIjLj3EESA_SA_jSA_SA_SA_SA_SA_SA_iiiiiiiiiiiDpT3_,"axG",@progbits,_ZL19k_bin_bcast_unravelIXadL_ZL9op_repeatffEE6__halfS0_S0_JEEvPKT0_PKT1_PT2_15HIP_vector_typeIjLj3EESA_SA_jSA_SA_SA_SA_SA_SA_iiiiiiiiiiiDpT3_,comdat
.Lfunc_end2:
	.size	_ZL19k_bin_bcast_unravelIXadL_ZL9op_repeatffEE6__halfS0_S0_JEEvPKT0_PKT1_PT2_15HIP_vector_typeIjLj3EESA_SA_jSA_SA_SA_SA_SA_SA_iiiiiiiiiiiDpT3_, .Lfunc_end2-_ZL19k_bin_bcast_unravelIXadL_ZL9op_repeatffEE6__halfS0_S0_JEEvPKT0_PKT1_PT2_15HIP_vector_typeIjLj3EESA_SA_jSA_SA_SA_SA_SA_SA_iiiiiiiiiiiDpT3_
                                        ; -- End function
	.set _ZL19k_bin_bcast_unravelIXadL_ZL9op_repeatffEE6__halfS0_S0_JEEvPKT0_PKT1_PT2_15HIP_vector_typeIjLj3EESA_SA_jSA_SA_SA_SA_SA_SA_iiiiiiiiiiiDpT3_.num_vgpr, 9
	.set _ZL19k_bin_bcast_unravelIXadL_ZL9op_repeatffEE6__halfS0_S0_JEEvPKT0_PKT1_PT2_15HIP_vector_typeIjLj3EESA_SA_jSA_SA_SA_SA_SA_SA_iiiiiiiiiiiDpT3_.num_agpr, 0
	.set _ZL19k_bin_bcast_unravelIXadL_ZL9op_repeatffEE6__halfS0_S0_JEEvPKT0_PKT1_PT2_15HIP_vector_typeIjLj3EESA_SA_jSA_SA_SA_SA_SA_SA_iiiiiiiiiiiDpT3_.numbered_sgpr, 24
	.set _ZL19k_bin_bcast_unravelIXadL_ZL9op_repeatffEE6__halfS0_S0_JEEvPKT0_PKT1_PT2_15HIP_vector_typeIjLj3EESA_SA_jSA_SA_SA_SA_SA_SA_iiiiiiiiiiiDpT3_.num_named_barrier, 0
	.set _ZL19k_bin_bcast_unravelIXadL_ZL9op_repeatffEE6__halfS0_S0_JEEvPKT0_PKT1_PT2_15HIP_vector_typeIjLj3EESA_SA_jSA_SA_SA_SA_SA_SA_iiiiiiiiiiiDpT3_.private_seg_size, 0
	.set _ZL19k_bin_bcast_unravelIXadL_ZL9op_repeatffEE6__halfS0_S0_JEEvPKT0_PKT1_PT2_15HIP_vector_typeIjLj3EESA_SA_jSA_SA_SA_SA_SA_SA_iiiiiiiiiiiDpT3_.uses_vcc, 1
	.set _ZL19k_bin_bcast_unravelIXadL_ZL9op_repeatffEE6__halfS0_S0_JEEvPKT0_PKT1_PT2_15HIP_vector_typeIjLj3EESA_SA_jSA_SA_SA_SA_SA_SA_iiiiiiiiiiiDpT3_.uses_flat_scratch, 0
	.set _ZL19k_bin_bcast_unravelIXadL_ZL9op_repeatffEE6__halfS0_S0_JEEvPKT0_PKT1_PT2_15HIP_vector_typeIjLj3EESA_SA_jSA_SA_SA_SA_SA_SA_iiiiiiiiiiiDpT3_.has_dyn_sized_stack, 0
	.set _ZL19k_bin_bcast_unravelIXadL_ZL9op_repeatffEE6__halfS0_S0_JEEvPKT0_PKT1_PT2_15HIP_vector_typeIjLj3EESA_SA_jSA_SA_SA_SA_SA_SA_iiiiiiiiiiiDpT3_.has_recursion, 0
	.set _ZL19k_bin_bcast_unravelIXadL_ZL9op_repeatffEE6__halfS0_S0_JEEvPKT0_PKT1_PT2_15HIP_vector_typeIjLj3EESA_SA_jSA_SA_SA_SA_SA_SA_iiiiiiiiiiiDpT3_.has_indirect_call, 0
	.section	.AMDGPU.csdata,"",@progbits
; Kernel info:
; codeLenInByte = 524
; TotalNumSgprs: 28
; NumVgprs: 9
; ScratchSize: 0
; MemoryBound: 0
; FloatMode: 240
; IeeeMode: 1
; LDSByteSize: 0 bytes/workgroup (compile time only)
; SGPRBlocks: 3
; VGPRBlocks: 2
; NumSGPRsForWavesPerEU: 28
; NumVGPRsForWavesPerEU: 9
; Occupancy: 10
; WaveLimiterHint : 1
; COMPUTE_PGM_RSRC2:SCRATCH_EN: 0
; COMPUTE_PGM_RSRC2:USER_SGPR: 6
; COMPUTE_PGM_RSRC2:TRAP_HANDLER: 0
; COMPUTE_PGM_RSRC2:TGID_X_EN: 1
; COMPUTE_PGM_RSRC2:TGID_Y_EN: 0
; COMPUTE_PGM_RSRC2:TGID_Z_EN: 0
; COMPUTE_PGM_RSRC2:TIDIG_COMP_CNT: 0
	.section	.text._ZL11k_bin_bcastIXadL_ZL9op_repeatffEE6__halfS0_S0_JEEvPKT0_PKT1_PT2_iii15HIP_vector_typeIjLj3EESA_SA_SA_SA_iiiiiiiiiiiDpT3_,"axG",@progbits,_ZL11k_bin_bcastIXadL_ZL9op_repeatffEE6__halfS0_S0_JEEvPKT0_PKT1_PT2_iii15HIP_vector_typeIjLj3EESA_SA_SA_SA_iiiiiiiiiiiDpT3_,comdat
	.globl	_ZL11k_bin_bcastIXadL_ZL9op_repeatffEE6__halfS0_S0_JEEvPKT0_PKT1_PT2_iii15HIP_vector_typeIjLj3EESA_SA_SA_SA_iiiiiiiiiiiDpT3_ ; -- Begin function _ZL11k_bin_bcastIXadL_ZL9op_repeatffEE6__halfS0_S0_JEEvPKT0_PKT1_PT2_iii15HIP_vector_typeIjLj3EESA_SA_SA_SA_iiiiiiiiiiiDpT3_
	.p2align	8
	.type	_ZL11k_bin_bcastIXadL_ZL9op_repeatffEE6__halfS0_S0_JEEvPKT0_PKT1_PT2_iii15HIP_vector_typeIjLj3EESA_SA_SA_SA_iiiiiiiiiiiDpT3_,@function
_ZL11k_bin_bcastIXadL_ZL9op_repeatffEE6__halfS0_S0_JEEvPKT0_PKT1_PT2_iii15HIP_vector_typeIjLj3EESA_SA_SA_SA_iiiiiiiiiiiDpT3_: ; @_ZL11k_bin_bcastIXadL_ZL9op_repeatffEE6__halfS0_S0_JEEvPKT0_PKT1_PT2_iii15HIP_vector_typeIjLj3EESA_SA_SA_SA_iiiiiiiiiiiDpT3_
; %bb.0:
	s_load_dwordx2 s[0:1], s[4:5], 0x9c
	s_load_dwordx8 s[12:19], s[4:5], 0x18
	s_add_u32 s2, s4, 0x90
	s_addc_u32 s3, s5, 0
	s_waitcnt lgkmcnt(0)
	s_and_b32 s1, s1, 0xffff
	s_mul_i32 s8, s8, s1
	v_add_u32_e32 v2, s8, v2
	v_mul_hi_u32 v3, v2, s15
	s_lshr_b32 s1, s0, 16
	s_and_b32 s15, s0, 0xffff
	s_mul_i32 s6, s6, s15
	v_add_u32_e32 v3, v2, v3
	v_lshrrev_b32_e32 v5, s16, v3
	v_mul_lo_u32 v4, v5, s17
	s_mul_i32 s7, s7, s1
	v_add_u32_e32 v0, s6, v0
	v_add_u32_e32 v3, s7, v1
	v_cmp_gt_u32_e32 vcc, s12, v0
	v_cmp_gt_u32_e64 s[0:1], s13, v3
	v_sub_u32_e32 v4, v2, v4
	s_and_b64 s[0:1], vcc, s[0:1]
	v_cmp_gt_u32_e32 vcc, s14, v5
	s_and_b64 s[0:1], s[0:1], vcc
	v_cmp_gt_u32_e32 vcc, s17, v4
	s_and_b64 s[0:1], s[0:1], vcc
	s_and_saveexec_b64 s[6:7], s[0:1]
	s_cbranch_execz .LBB3_4
; %bb.1:
	v_cmp_gt_i32_e32 vcc, s12, v0
	s_and_b64 exec, exec, vcc
	s_cbranch_execz .LBB3_4
; %bb.2:
	s_load_dwordx4 s[8:11], s[4:5], 0x60
	s_load_dwordx8 s[20:27], s[4:5], 0x3c
	s_load_dword s0, s[4:5], 0x5c
	s_load_dword s1, s[4:5], 0x38
	s_load_dwordx4 s[28:31], s[4:5], 0x8
	s_load_dword s6, s[2:3], 0x0
	s_mov_b64 s[2:3], 0
	s_waitcnt lgkmcnt(0)
	v_mul_lo_u32 v1, v4, s10
	v_mul_lo_u32 v2, v5, s9
	;; [unrolled: 1-line block ×3, first 2 shown]
	v_mul_hi_u32 v8, s23, v5
	v_mul_hi_u32 v9, s26, v4
	s_load_dwordx4 s[8:11], s[4:5], 0x7c
	v_add3_u32 v1, v2, v6, v1
	v_mov_b32_e32 v2, 0
	v_lshlrev_b64 v[6:7], 1, v[1:2]
	v_add_u32_e32 v1, v5, v8
	v_lshrrev_b32_e32 v1, s24, v1
	v_mul_lo_u32 v1, v1, s25
	v_add_u32_e32 v9, v4, v9
	v_lshrrev_b32_e32 v9, s27, v9
	v_mul_lo_u32 v9, v9, s0
	v_sub_u32_e32 v1, v5, v1
	v_mul_hi_u32 v5, s20, v3
	s_waitcnt lgkmcnt(0)
	v_mul_lo_u32 v1, v1, s10
	v_sub_u32_e32 v4, v4, v9
	v_mul_lo_u32 v9, v4, s11
	v_add_u32_e32 v5, v3, v5
	v_lshrrev_b32_e32 v5, s21, v5
	v_mul_lo_u32 v5, v5, s22
	v_mov_b32_e32 v8, s31
	s_mul_i32 s4, s6, s15
	s_sub_i32 s5, 0, s1
	v_sub_u32_e32 v3, v3, v5
	v_mul_lo_u32 v5, v3, s9
	v_add_co_u32_e32 v3, vcc, s30, v6
	v_addc_co_u32_e32 v4, vcc, v8, v7, vcc
	v_add3_u32 v1, v1, v9, v5
	v_lshlrev_b64 v[5:6], 1, v[1:2]
	v_mov_b32_e32 v1, s29
	v_add_co_u32_e32 v5, vcc, s28, v5
	v_addc_co_u32_e32 v6, vcc, v1, v6, vcc
.LBB3_3:                                ; =>This Inner Loop Header: Depth=1
	v_mul_hi_u32 v1, s18, v0
	v_add_u32_e32 v1, v0, v1
	v_lshrrev_b32_e32 v1, s19, v1
	v_mad_u64_u32 v[7:8], s[0:1], s5, v1, v[0:1]
	v_mul_lo_u32 v1, v7, s8
	v_lshlrev_b64 v[7:8], 1, v[1:2]
	v_ashrrev_i32_e32 v1, 31, v0
	v_add_co_u32_e32 v7, vcc, v5, v7
	v_addc_co_u32_e32 v8, vcc, v6, v8, vcc
	global_load_ushort v9, v[7:8], off
	v_lshlrev_b64 v[7:8], 1, v[0:1]
	v_add_u32_e32 v0, s4, v0
	v_cmp_le_i32_e32 vcc, s12, v0
	v_add_co_u32_e64 v7, s[0:1], v3, v7
	v_addc_co_u32_e64 v8, s[0:1], v4, v8, s[0:1]
	s_or_b64 s[2:3], vcc, s[2:3]
	s_waitcnt vmcnt(0)
	global_store_short v[7:8], v9, off
	s_andn2_b64 exec, exec, s[2:3]
	s_cbranch_execnz .LBB3_3
.LBB3_4:
	s_endpgm
	.section	.rodata,"a",@progbits
	.p2align	6, 0x0
	.amdhsa_kernel _ZL11k_bin_bcastIXadL_ZL9op_repeatffEE6__halfS0_S0_JEEvPKT0_PKT1_PT2_iii15HIP_vector_typeIjLj3EESA_SA_SA_SA_iiiiiiiiiiiDpT3_
		.amdhsa_group_segment_fixed_size 0
		.amdhsa_private_segment_fixed_size 0
		.amdhsa_kernarg_size 400
		.amdhsa_user_sgpr_count 6
		.amdhsa_user_sgpr_private_segment_buffer 1
		.amdhsa_user_sgpr_dispatch_ptr 0
		.amdhsa_user_sgpr_queue_ptr 0
		.amdhsa_user_sgpr_kernarg_segment_ptr 1
		.amdhsa_user_sgpr_dispatch_id 0
		.amdhsa_user_sgpr_flat_scratch_init 0
		.amdhsa_user_sgpr_private_segment_size 0
		.amdhsa_uses_dynamic_stack 0
		.amdhsa_system_sgpr_private_segment_wavefront_offset 0
		.amdhsa_system_sgpr_workgroup_id_x 1
		.amdhsa_system_sgpr_workgroup_id_y 1
		.amdhsa_system_sgpr_workgroup_id_z 1
		.amdhsa_system_sgpr_workgroup_info 0
		.amdhsa_system_vgpr_workitem_id 2
		.amdhsa_next_free_vgpr 10
		.amdhsa_next_free_sgpr 32
		.amdhsa_reserve_vcc 1
		.amdhsa_reserve_flat_scratch 0
		.amdhsa_float_round_mode_32 0
		.amdhsa_float_round_mode_16_64 0
		.amdhsa_float_denorm_mode_32 3
		.amdhsa_float_denorm_mode_16_64 3
		.amdhsa_dx10_clamp 1
		.amdhsa_ieee_mode 1
		.amdhsa_fp16_overflow 0
		.amdhsa_exception_fp_ieee_invalid_op 0
		.amdhsa_exception_fp_denorm_src 0
		.amdhsa_exception_fp_ieee_div_zero 0
		.amdhsa_exception_fp_ieee_overflow 0
		.amdhsa_exception_fp_ieee_underflow 0
		.amdhsa_exception_fp_ieee_inexact 0
		.amdhsa_exception_int_div_zero 0
	.end_amdhsa_kernel
	.section	.text._ZL11k_bin_bcastIXadL_ZL9op_repeatffEE6__halfS0_S0_JEEvPKT0_PKT1_PT2_iii15HIP_vector_typeIjLj3EESA_SA_SA_SA_iiiiiiiiiiiDpT3_,"axG",@progbits,_ZL11k_bin_bcastIXadL_ZL9op_repeatffEE6__halfS0_S0_JEEvPKT0_PKT1_PT2_iii15HIP_vector_typeIjLj3EESA_SA_SA_SA_iiiiiiiiiiiDpT3_,comdat
.Lfunc_end3:
	.size	_ZL11k_bin_bcastIXadL_ZL9op_repeatffEE6__halfS0_S0_JEEvPKT0_PKT1_PT2_iii15HIP_vector_typeIjLj3EESA_SA_SA_SA_iiiiiiiiiiiDpT3_, .Lfunc_end3-_ZL11k_bin_bcastIXadL_ZL9op_repeatffEE6__halfS0_S0_JEEvPKT0_PKT1_PT2_iii15HIP_vector_typeIjLj3EESA_SA_SA_SA_iiiiiiiiiiiDpT3_
                                        ; -- End function
	.set _ZL11k_bin_bcastIXadL_ZL9op_repeatffEE6__halfS0_S0_JEEvPKT0_PKT1_PT2_iii15HIP_vector_typeIjLj3EESA_SA_SA_SA_iiiiiiiiiiiDpT3_.num_vgpr, 10
	.set _ZL11k_bin_bcastIXadL_ZL9op_repeatffEE6__halfS0_S0_JEEvPKT0_PKT1_PT2_iii15HIP_vector_typeIjLj3EESA_SA_SA_SA_iiiiiiiiiiiDpT3_.num_agpr, 0
	.set _ZL11k_bin_bcastIXadL_ZL9op_repeatffEE6__halfS0_S0_JEEvPKT0_PKT1_PT2_iii15HIP_vector_typeIjLj3EESA_SA_SA_SA_iiiiiiiiiiiDpT3_.numbered_sgpr, 32
	.set _ZL11k_bin_bcastIXadL_ZL9op_repeatffEE6__halfS0_S0_JEEvPKT0_PKT1_PT2_iii15HIP_vector_typeIjLj3EESA_SA_SA_SA_iiiiiiiiiiiDpT3_.num_named_barrier, 0
	.set _ZL11k_bin_bcastIXadL_ZL9op_repeatffEE6__halfS0_S0_JEEvPKT0_PKT1_PT2_iii15HIP_vector_typeIjLj3EESA_SA_SA_SA_iiiiiiiiiiiDpT3_.private_seg_size, 0
	.set _ZL11k_bin_bcastIXadL_ZL9op_repeatffEE6__halfS0_S0_JEEvPKT0_PKT1_PT2_iii15HIP_vector_typeIjLj3EESA_SA_SA_SA_iiiiiiiiiiiDpT3_.uses_vcc, 1
	.set _ZL11k_bin_bcastIXadL_ZL9op_repeatffEE6__halfS0_S0_JEEvPKT0_PKT1_PT2_iii15HIP_vector_typeIjLj3EESA_SA_SA_SA_iiiiiiiiiiiDpT3_.uses_flat_scratch, 0
	.set _ZL11k_bin_bcastIXadL_ZL9op_repeatffEE6__halfS0_S0_JEEvPKT0_PKT1_PT2_iii15HIP_vector_typeIjLj3EESA_SA_SA_SA_iiiiiiiiiiiDpT3_.has_dyn_sized_stack, 0
	.set _ZL11k_bin_bcastIXadL_ZL9op_repeatffEE6__halfS0_S0_JEEvPKT0_PKT1_PT2_iii15HIP_vector_typeIjLj3EESA_SA_SA_SA_iiiiiiiiiiiDpT3_.has_recursion, 0
	.set _ZL11k_bin_bcastIXadL_ZL9op_repeatffEE6__halfS0_S0_JEEvPKT0_PKT1_PT2_iii15HIP_vector_typeIjLj3EESA_SA_SA_SA_iiiiiiiiiiiDpT3_.has_indirect_call, 0
	.section	.AMDGPU.csdata,"",@progbits
; Kernel info:
; codeLenInByte = 544
; TotalNumSgprs: 36
; NumVgprs: 10
; ScratchSize: 0
; MemoryBound: 0
; FloatMode: 240
; IeeeMode: 1
; LDSByteSize: 0 bytes/workgroup (compile time only)
; SGPRBlocks: 4
; VGPRBlocks: 2
; NumSGPRsForWavesPerEU: 36
; NumVGPRsForWavesPerEU: 10
; Occupancy: 10
; WaveLimiterHint : 1
; COMPUTE_PGM_RSRC2:SCRATCH_EN: 0
; COMPUTE_PGM_RSRC2:USER_SGPR: 6
; COMPUTE_PGM_RSRC2:TRAP_HANDLER: 0
; COMPUTE_PGM_RSRC2:TGID_X_EN: 1
; COMPUTE_PGM_RSRC2:TGID_Y_EN: 1
; COMPUTE_PGM_RSRC2:TGID_Z_EN: 1
; COMPUTE_PGM_RSRC2:TIDIG_COMP_CNT: 2
	.section	.text._ZL19k_bin_bcast_unravelIXadL_ZL9op_repeatffEE6__halffS0_JEEvPKT0_PKT1_PT2_15HIP_vector_typeIjLj3EESA_SA_jSA_SA_SA_SA_SA_SA_iiiiiiiiiiiDpT3_,"axG",@progbits,_ZL19k_bin_bcast_unravelIXadL_ZL9op_repeatffEE6__halffS0_JEEvPKT0_PKT1_PT2_15HIP_vector_typeIjLj3EESA_SA_jSA_SA_SA_SA_SA_SA_iiiiiiiiiiiDpT3_,comdat
	.globl	_ZL19k_bin_bcast_unravelIXadL_ZL9op_repeatffEE6__halffS0_JEEvPKT0_PKT1_PT2_15HIP_vector_typeIjLj3EESA_SA_jSA_SA_SA_SA_SA_SA_iiiiiiiiiiiDpT3_ ; -- Begin function _ZL19k_bin_bcast_unravelIXadL_ZL9op_repeatffEE6__halffS0_JEEvPKT0_PKT1_PT2_15HIP_vector_typeIjLj3EESA_SA_jSA_SA_SA_SA_SA_SA_iiiiiiiiiiiDpT3_
	.p2align	8
	.type	_ZL19k_bin_bcast_unravelIXadL_ZL9op_repeatffEE6__halffS0_JEEvPKT0_PKT1_PT2_15HIP_vector_typeIjLj3EESA_SA_jSA_SA_SA_SA_SA_SA_iiiiiiiiiiiDpT3_,@function
_ZL19k_bin_bcast_unravelIXadL_ZL9op_repeatffEE6__halffS0_JEEvPKT0_PKT1_PT2_15HIP_vector_typeIjLj3EESA_SA_jSA_SA_SA_SA_SA_SA_iiiiiiiiiiiDpT3_: ; @_ZL19k_bin_bcast_unravelIXadL_ZL9op_repeatffEE6__halffS0_JEEvPKT0_PKT1_PT2_15HIP_vector_typeIjLj3EESA_SA_jSA_SA_SA_SA_SA_SA_iiiiiiiiiiiDpT3_
; %bb.0:
	s_load_dword s0, s[4:5], 0xc4
	s_load_dwordx8 s[8:15], s[4:5], 0x38
	s_waitcnt lgkmcnt(0)
	s_and_b32 s0, s0, 0xffff
	s_mul_i32 s6, s6, s0
	v_add_u32_e32 v0, s6, v0
	v_mul_hi_u32 v1, v0, s10
	s_load_dwordx4 s[0:3], s[4:5], 0x18
	s_waitcnt lgkmcnt(0)
	s_load_dword s3, s[4:5], 0x2c
	v_add_u32_e32 v1, v0, v1
	v_lshrrev_b32_e32 v1, s11, v1
	v_mul_lo_u32 v2, v1, s12
	v_sub_u32_e32 v0, v0, v2
	v_mul_hi_u32 v2, v0, s13
	v_add_u32_e32 v2, v0, v2
	v_lshrrev_b32_e32 v2, s14, v2
	v_mul_lo_u32 v3, v2, s15
	v_cmp_gt_u32_e32 vcc, s8, v2
	v_sub_u32_e32 v0, v0, v3
	v_mul_hi_u32 v3, v0, s0
	v_add_u32_e32 v3, v0, v3
	v_lshrrev_b32_e32 v3, s1, v3
	v_mul_lo_u32 v4, v3, s2
	s_waitcnt lgkmcnt(0)
	v_cmp_gt_u32_e64 s[0:1], s3, v3
	v_sub_u32_e32 v0, v0, v4
	v_cmp_gt_u32_e64 s[2:3], s2, v0
	s_and_b64 s[0:1], s[2:3], s[0:1]
	s_and_b64 s[0:1], s[0:1], vcc
	v_cmp_gt_u32_e32 vcc, s9, v1
	s_and_b64 s[0:1], vcc, s[0:1]
	s_and_saveexec_b64 s[2:3], s[0:1]
	s_cbranch_execz .LBB4_2
; %bb.1:
	s_load_dwordx8 s[16:23], s[4:5], 0x58
	s_load_dwordx8 s[8:15], s[4:5], 0x78
	s_load_dwordx4 s[0:3], s[4:5], 0xa4
	s_waitcnt lgkmcnt(0)
	v_mul_hi_u32 v4, s19, v3
	v_mul_hi_u32 v5, s22, v2
	;; [unrolled: 1-line block ×4, first 2 shown]
	v_add_u32_e32 v4, v3, v4
	v_add_u32_e32 v5, v2, v5
	;; [unrolled: 1-line block ×3, first 2 shown]
	v_lshrrev_b32_e32 v4, s20, v4
	v_lshrrev_b32_e32 v5, s23, v5
	v_lshrrev_b32_e32 v6, s10, v6
	v_mul_lo_u32 v4, v4, s21
	v_mul_lo_u32 v5, v5, s8
	;; [unrolled: 1-line block ×3, first 2 shown]
	v_add_u32_e32 v7, v0, v7
	v_lshrrev_b32_e32 v7, s17, v7
	v_mul_lo_u32 v7, v7, s18
	v_sub_u32_e32 v4, v3, v4
	v_sub_u32_e32 v5, v2, v5
	;; [unrolled: 1-line block ×3, first 2 shown]
	v_mul_lo_u32 v6, v6, s3
	v_mul_lo_u32 v5, v5, s2
	;; [unrolled: 1-line block ×3, first 2 shown]
	v_sub_u32_e32 v4, v0, v7
	v_mul_lo_u32 v4, v4, s0
	s_load_dwordx4 s[0:3], s[4:5], 0x8
	v_add3_u32 v6, v5, v6, v8
	v_ashrrev_i32_e32 v7, 31, v6
	v_lshlrev_b64 v[6:7], 2, v[6:7]
	v_ashrrev_i32_e32 v5, 31, v4
	s_waitcnt lgkmcnt(0)
	v_mov_b32_e32 v8, s1
	v_add_co_u32_e32 v6, vcc, s0, v6
	v_lshlrev_b64 v[4:5], 2, v[4:5]
	v_addc_co_u32_e32 v7, vcc, v8, v7, vcc
	v_add_co_u32_e32 v4, vcc, v6, v4
	v_addc_co_u32_e32 v5, vcc, v7, v5, vcc
	global_load_dword v5, v[4:5], off
	v_mul_lo_u32 v6, v1, s14
	v_mul_lo_u32 v2, v2, s13
	;; [unrolled: 1-line block ×3, first 2 shown]
	v_mov_b32_e32 v4, 0
	v_mov_b32_e32 v1, v4
	v_lshlrev_b64 v[0:1], 1, v[0:1]
	v_add3_u32 v3, v2, v6, v3
	v_lshlrev_b64 v[2:3], 1, v[3:4]
	v_mov_b32_e32 v7, s3
	v_add_co_u32_e32 v2, vcc, s2, v2
	v_addc_co_u32_e32 v3, vcc, v7, v3, vcc
	v_add_co_u32_e32 v0, vcc, v2, v0
	v_addc_co_u32_e32 v1, vcc, v3, v1, vcc
	s_waitcnt vmcnt(0)
	v_cvt_f16_f32_e32 v4, v5
	global_store_short v[0:1], v4, off
.LBB4_2:
	s_endpgm
	.section	.rodata,"a",@progbits
	.p2align	6, 0x0
	.amdhsa_kernel _ZL19k_bin_bcast_unravelIXadL_ZL9op_repeatffEE6__halffS0_JEEvPKT0_PKT1_PT2_15HIP_vector_typeIjLj3EESA_SA_jSA_SA_SA_SA_SA_SA_iiiiiiiiiiiDpT3_
		.amdhsa_group_segment_fixed_size 0
		.amdhsa_private_segment_fixed_size 0
		.amdhsa_kernarg_size 440
		.amdhsa_user_sgpr_count 6
		.amdhsa_user_sgpr_private_segment_buffer 1
		.amdhsa_user_sgpr_dispatch_ptr 0
		.amdhsa_user_sgpr_queue_ptr 0
		.amdhsa_user_sgpr_kernarg_segment_ptr 1
		.amdhsa_user_sgpr_dispatch_id 0
		.amdhsa_user_sgpr_flat_scratch_init 0
		.amdhsa_user_sgpr_private_segment_size 0
		.amdhsa_uses_dynamic_stack 0
		.amdhsa_system_sgpr_private_segment_wavefront_offset 0
		.amdhsa_system_sgpr_workgroup_id_x 1
		.amdhsa_system_sgpr_workgroup_id_y 0
		.amdhsa_system_sgpr_workgroup_id_z 0
		.amdhsa_system_sgpr_workgroup_info 0
		.amdhsa_system_vgpr_workitem_id 0
		.amdhsa_next_free_vgpr 9
		.amdhsa_next_free_sgpr 24
		.amdhsa_reserve_vcc 1
		.amdhsa_reserve_flat_scratch 0
		.amdhsa_float_round_mode_32 0
		.amdhsa_float_round_mode_16_64 0
		.amdhsa_float_denorm_mode_32 3
		.amdhsa_float_denorm_mode_16_64 3
		.amdhsa_dx10_clamp 1
		.amdhsa_ieee_mode 1
		.amdhsa_fp16_overflow 0
		.amdhsa_exception_fp_ieee_invalid_op 0
		.amdhsa_exception_fp_denorm_src 0
		.amdhsa_exception_fp_ieee_div_zero 0
		.amdhsa_exception_fp_ieee_overflow 0
		.amdhsa_exception_fp_ieee_underflow 0
		.amdhsa_exception_fp_ieee_inexact 0
		.amdhsa_exception_int_div_zero 0
	.end_amdhsa_kernel
	.section	.text._ZL19k_bin_bcast_unravelIXadL_ZL9op_repeatffEE6__halffS0_JEEvPKT0_PKT1_PT2_15HIP_vector_typeIjLj3EESA_SA_jSA_SA_SA_SA_SA_SA_iiiiiiiiiiiDpT3_,"axG",@progbits,_ZL19k_bin_bcast_unravelIXadL_ZL9op_repeatffEE6__halffS0_JEEvPKT0_PKT1_PT2_15HIP_vector_typeIjLj3EESA_SA_jSA_SA_SA_SA_SA_SA_iiiiiiiiiiiDpT3_,comdat
.Lfunc_end4:
	.size	_ZL19k_bin_bcast_unravelIXadL_ZL9op_repeatffEE6__halffS0_JEEvPKT0_PKT1_PT2_15HIP_vector_typeIjLj3EESA_SA_jSA_SA_SA_SA_SA_SA_iiiiiiiiiiiDpT3_, .Lfunc_end4-_ZL19k_bin_bcast_unravelIXadL_ZL9op_repeatffEE6__halffS0_JEEvPKT0_PKT1_PT2_15HIP_vector_typeIjLj3EESA_SA_jSA_SA_SA_SA_SA_SA_iiiiiiiiiiiDpT3_
                                        ; -- End function
	.set _ZL19k_bin_bcast_unravelIXadL_ZL9op_repeatffEE6__halffS0_JEEvPKT0_PKT1_PT2_15HIP_vector_typeIjLj3EESA_SA_jSA_SA_SA_SA_SA_SA_iiiiiiiiiiiDpT3_.num_vgpr, 9
	.set _ZL19k_bin_bcast_unravelIXadL_ZL9op_repeatffEE6__halffS0_JEEvPKT0_PKT1_PT2_15HIP_vector_typeIjLj3EESA_SA_jSA_SA_SA_SA_SA_SA_iiiiiiiiiiiDpT3_.num_agpr, 0
	.set _ZL19k_bin_bcast_unravelIXadL_ZL9op_repeatffEE6__halffS0_JEEvPKT0_PKT1_PT2_15HIP_vector_typeIjLj3EESA_SA_jSA_SA_SA_SA_SA_SA_iiiiiiiiiiiDpT3_.numbered_sgpr, 24
	.set _ZL19k_bin_bcast_unravelIXadL_ZL9op_repeatffEE6__halffS0_JEEvPKT0_PKT1_PT2_15HIP_vector_typeIjLj3EESA_SA_jSA_SA_SA_SA_SA_SA_iiiiiiiiiiiDpT3_.num_named_barrier, 0
	.set _ZL19k_bin_bcast_unravelIXadL_ZL9op_repeatffEE6__halffS0_JEEvPKT0_PKT1_PT2_15HIP_vector_typeIjLj3EESA_SA_jSA_SA_SA_SA_SA_SA_iiiiiiiiiiiDpT3_.private_seg_size, 0
	.set _ZL19k_bin_bcast_unravelIXadL_ZL9op_repeatffEE6__halffS0_JEEvPKT0_PKT1_PT2_15HIP_vector_typeIjLj3EESA_SA_jSA_SA_SA_SA_SA_SA_iiiiiiiiiiiDpT3_.uses_vcc, 1
	.set _ZL19k_bin_bcast_unravelIXadL_ZL9op_repeatffEE6__halffS0_JEEvPKT0_PKT1_PT2_15HIP_vector_typeIjLj3EESA_SA_jSA_SA_SA_SA_SA_SA_iiiiiiiiiiiDpT3_.uses_flat_scratch, 0
	.set _ZL19k_bin_bcast_unravelIXadL_ZL9op_repeatffEE6__halffS0_JEEvPKT0_PKT1_PT2_15HIP_vector_typeIjLj3EESA_SA_jSA_SA_SA_SA_SA_SA_iiiiiiiiiiiDpT3_.has_dyn_sized_stack, 0
	.set _ZL19k_bin_bcast_unravelIXadL_ZL9op_repeatffEE6__halffS0_JEEvPKT0_PKT1_PT2_15HIP_vector_typeIjLj3EESA_SA_jSA_SA_SA_SA_SA_SA_iiiiiiiiiiiDpT3_.has_recursion, 0
	.set _ZL19k_bin_bcast_unravelIXadL_ZL9op_repeatffEE6__halffS0_JEEvPKT0_PKT1_PT2_15HIP_vector_typeIjLj3EESA_SA_jSA_SA_SA_SA_SA_SA_iiiiiiiiiiiDpT3_.has_indirect_call, 0
	.section	.AMDGPU.csdata,"",@progbits
; Kernel info:
; codeLenInByte = 528
; TotalNumSgprs: 28
; NumVgprs: 9
; ScratchSize: 0
; MemoryBound: 0
; FloatMode: 240
; IeeeMode: 1
; LDSByteSize: 0 bytes/workgroup (compile time only)
; SGPRBlocks: 3
; VGPRBlocks: 2
; NumSGPRsForWavesPerEU: 28
; NumVGPRsForWavesPerEU: 9
; Occupancy: 10
; WaveLimiterHint : 1
; COMPUTE_PGM_RSRC2:SCRATCH_EN: 0
; COMPUTE_PGM_RSRC2:USER_SGPR: 6
; COMPUTE_PGM_RSRC2:TRAP_HANDLER: 0
; COMPUTE_PGM_RSRC2:TGID_X_EN: 1
; COMPUTE_PGM_RSRC2:TGID_Y_EN: 0
; COMPUTE_PGM_RSRC2:TGID_Z_EN: 0
; COMPUTE_PGM_RSRC2:TIDIG_COMP_CNT: 0
	.section	.text._ZL11k_bin_bcastIXadL_ZL9op_repeatffEE6__halffS0_JEEvPKT0_PKT1_PT2_iii15HIP_vector_typeIjLj3EESA_SA_SA_SA_iiiiiiiiiiiDpT3_,"axG",@progbits,_ZL11k_bin_bcastIXadL_ZL9op_repeatffEE6__halffS0_JEEvPKT0_PKT1_PT2_iii15HIP_vector_typeIjLj3EESA_SA_SA_SA_iiiiiiiiiiiDpT3_,comdat
	.globl	_ZL11k_bin_bcastIXadL_ZL9op_repeatffEE6__halffS0_JEEvPKT0_PKT1_PT2_iii15HIP_vector_typeIjLj3EESA_SA_SA_SA_iiiiiiiiiiiDpT3_ ; -- Begin function _ZL11k_bin_bcastIXadL_ZL9op_repeatffEE6__halffS0_JEEvPKT0_PKT1_PT2_iii15HIP_vector_typeIjLj3EESA_SA_SA_SA_iiiiiiiiiiiDpT3_
	.p2align	8
	.type	_ZL11k_bin_bcastIXadL_ZL9op_repeatffEE6__halffS0_JEEvPKT0_PKT1_PT2_iii15HIP_vector_typeIjLj3EESA_SA_SA_SA_iiiiiiiiiiiDpT3_,@function
_ZL11k_bin_bcastIXadL_ZL9op_repeatffEE6__halffS0_JEEvPKT0_PKT1_PT2_iii15HIP_vector_typeIjLj3EESA_SA_SA_SA_iiiiiiiiiiiDpT3_: ; @_ZL11k_bin_bcastIXadL_ZL9op_repeatffEE6__halffS0_JEEvPKT0_PKT1_PT2_iii15HIP_vector_typeIjLj3EESA_SA_SA_SA_iiiiiiiiiiiDpT3_
; %bb.0:
	s_load_dwordx2 s[0:1], s[4:5], 0x9c
	s_load_dwordx8 s[12:19], s[4:5], 0x18
	s_add_u32 s2, s4, 0x90
	s_addc_u32 s3, s5, 0
	s_waitcnt lgkmcnt(0)
	s_and_b32 s1, s1, 0xffff
	s_mul_i32 s8, s8, s1
	v_add_u32_e32 v2, s8, v2
	v_mul_hi_u32 v3, v2, s15
	s_lshr_b32 s1, s0, 16
	s_and_b32 s15, s0, 0xffff
	s_mul_i32 s6, s6, s15
	v_add_u32_e32 v3, v2, v3
	v_lshrrev_b32_e32 v5, s16, v3
	v_mul_lo_u32 v4, v5, s17
	s_mul_i32 s7, s7, s1
	v_add_u32_e32 v0, s6, v0
	v_add_u32_e32 v3, s7, v1
	v_cmp_gt_u32_e32 vcc, s12, v0
	v_cmp_gt_u32_e64 s[0:1], s13, v3
	v_sub_u32_e32 v4, v2, v4
	s_and_b64 s[0:1], vcc, s[0:1]
	v_cmp_gt_u32_e32 vcc, s14, v5
	s_and_b64 s[0:1], s[0:1], vcc
	v_cmp_gt_u32_e32 vcc, s17, v4
	s_and_b64 s[0:1], s[0:1], vcc
	s_and_saveexec_b64 s[6:7], s[0:1]
	s_cbranch_execz .LBB5_4
; %bb.1:
	v_cmp_gt_i32_e32 vcc, s12, v0
	s_and_b64 exec, exec, vcc
	s_cbranch_execz .LBB5_4
; %bb.2:
	s_load_dwordx4 s[8:11], s[4:5], 0x60
	s_load_dwordx8 s[20:27], s[4:5], 0x3c
	s_load_dword s0, s[4:5], 0x5c
	s_load_dword s1, s[4:5], 0x38
	s_load_dwordx4 s[28:31], s[4:5], 0x8
	s_load_dword s6, s[2:3], 0x0
	s_mov_b64 s[2:3], 0
	s_waitcnt lgkmcnt(0)
	v_mul_lo_u32 v1, v4, s10
	v_mul_lo_u32 v2, v5, s9
	;; [unrolled: 1-line block ×3, first 2 shown]
	v_mul_hi_u32 v8, s23, v5
	v_mul_hi_u32 v9, s26, v4
	s_load_dwordx4 s[8:11], s[4:5], 0x7c
	v_add3_u32 v1, v2, v6, v1
	v_mov_b32_e32 v2, 0
	v_lshlrev_b64 v[6:7], 1, v[1:2]
	v_add_u32_e32 v1, v5, v8
	v_lshrrev_b32_e32 v1, s24, v1
	v_mul_lo_u32 v1, v1, s25
	v_add_u32_e32 v9, v4, v9
	v_lshrrev_b32_e32 v9, s27, v9
	v_mul_lo_u32 v9, v9, s0
	v_sub_u32_e32 v1, v5, v1
	v_mul_hi_u32 v5, s20, v3
	s_waitcnt lgkmcnt(0)
	v_mul_lo_u32 v1, v1, s10
	v_sub_u32_e32 v4, v4, v9
	v_mul_lo_u32 v9, v4, s11
	v_add_u32_e32 v5, v3, v5
	v_lshrrev_b32_e32 v5, s21, v5
	v_mul_lo_u32 v5, v5, s22
	v_mov_b32_e32 v8, s31
	s_mul_i32 s4, s6, s15
	s_sub_i32 s5, 0, s1
	v_sub_u32_e32 v3, v3, v5
	v_mul_lo_u32 v5, v3, s9
	v_add_co_u32_e32 v3, vcc, s30, v6
	v_addc_co_u32_e32 v4, vcc, v8, v7, vcc
	v_add3_u32 v1, v1, v9, v5
	v_lshlrev_b64 v[5:6], 2, v[1:2]
	v_mov_b32_e32 v1, s29
	v_add_co_u32_e32 v5, vcc, s28, v5
	v_addc_co_u32_e32 v6, vcc, v1, v6, vcc
.LBB5_3:                                ; =>This Inner Loop Header: Depth=1
	v_mul_hi_u32 v1, s18, v0
	v_add_u32_e32 v1, v0, v1
	v_lshrrev_b32_e32 v1, s19, v1
	v_mad_u64_u32 v[7:8], s[0:1], s5, v1, v[0:1]
	v_mul_lo_u32 v1, v7, s8
	v_lshlrev_b64 v[7:8], 2, v[1:2]
	v_ashrrev_i32_e32 v1, 31, v0
	v_add_co_u32_e32 v7, vcc, v5, v7
	v_addc_co_u32_e32 v8, vcc, v6, v8, vcc
	global_load_dword v9, v[7:8], off
	v_lshlrev_b64 v[7:8], 1, v[0:1]
	v_add_u32_e32 v0, s4, v0
	v_cmp_le_i32_e32 vcc, s12, v0
	v_add_co_u32_e64 v7, s[0:1], v3, v7
	v_addc_co_u32_e64 v8, s[0:1], v4, v8, s[0:1]
	s_or_b64 s[2:3], vcc, s[2:3]
	s_waitcnt vmcnt(0)
	v_cvt_f16_f32_e32 v1, v9
	global_store_short v[7:8], v1, off
	s_andn2_b64 exec, exec, s[2:3]
	s_cbranch_execnz .LBB5_3
.LBB5_4:
	s_endpgm
	.section	.rodata,"a",@progbits
	.p2align	6, 0x0
	.amdhsa_kernel _ZL11k_bin_bcastIXadL_ZL9op_repeatffEE6__halffS0_JEEvPKT0_PKT1_PT2_iii15HIP_vector_typeIjLj3EESA_SA_SA_SA_iiiiiiiiiiiDpT3_
		.amdhsa_group_segment_fixed_size 0
		.amdhsa_private_segment_fixed_size 0
		.amdhsa_kernarg_size 400
		.amdhsa_user_sgpr_count 6
		.amdhsa_user_sgpr_private_segment_buffer 1
		.amdhsa_user_sgpr_dispatch_ptr 0
		.amdhsa_user_sgpr_queue_ptr 0
		.amdhsa_user_sgpr_kernarg_segment_ptr 1
		.amdhsa_user_sgpr_dispatch_id 0
		.amdhsa_user_sgpr_flat_scratch_init 0
		.amdhsa_user_sgpr_private_segment_size 0
		.amdhsa_uses_dynamic_stack 0
		.amdhsa_system_sgpr_private_segment_wavefront_offset 0
		.amdhsa_system_sgpr_workgroup_id_x 1
		.amdhsa_system_sgpr_workgroup_id_y 1
		.amdhsa_system_sgpr_workgroup_id_z 1
		.amdhsa_system_sgpr_workgroup_info 0
		.amdhsa_system_vgpr_workitem_id 2
		.amdhsa_next_free_vgpr 10
		.amdhsa_next_free_sgpr 32
		.amdhsa_reserve_vcc 1
		.amdhsa_reserve_flat_scratch 0
		.amdhsa_float_round_mode_32 0
		.amdhsa_float_round_mode_16_64 0
		.amdhsa_float_denorm_mode_32 3
		.amdhsa_float_denorm_mode_16_64 3
		.amdhsa_dx10_clamp 1
		.amdhsa_ieee_mode 1
		.amdhsa_fp16_overflow 0
		.amdhsa_exception_fp_ieee_invalid_op 0
		.amdhsa_exception_fp_denorm_src 0
		.amdhsa_exception_fp_ieee_div_zero 0
		.amdhsa_exception_fp_ieee_overflow 0
		.amdhsa_exception_fp_ieee_underflow 0
		.amdhsa_exception_fp_ieee_inexact 0
		.amdhsa_exception_int_div_zero 0
	.end_amdhsa_kernel
	.section	.text._ZL11k_bin_bcastIXadL_ZL9op_repeatffEE6__halffS0_JEEvPKT0_PKT1_PT2_iii15HIP_vector_typeIjLj3EESA_SA_SA_SA_iiiiiiiiiiiDpT3_,"axG",@progbits,_ZL11k_bin_bcastIXadL_ZL9op_repeatffEE6__halffS0_JEEvPKT0_PKT1_PT2_iii15HIP_vector_typeIjLj3EESA_SA_SA_SA_iiiiiiiiiiiDpT3_,comdat
.Lfunc_end5:
	.size	_ZL11k_bin_bcastIXadL_ZL9op_repeatffEE6__halffS0_JEEvPKT0_PKT1_PT2_iii15HIP_vector_typeIjLj3EESA_SA_SA_SA_iiiiiiiiiiiDpT3_, .Lfunc_end5-_ZL11k_bin_bcastIXadL_ZL9op_repeatffEE6__halffS0_JEEvPKT0_PKT1_PT2_iii15HIP_vector_typeIjLj3EESA_SA_SA_SA_iiiiiiiiiiiDpT3_
                                        ; -- End function
	.set _ZL11k_bin_bcastIXadL_ZL9op_repeatffEE6__halffS0_JEEvPKT0_PKT1_PT2_iii15HIP_vector_typeIjLj3EESA_SA_SA_SA_iiiiiiiiiiiDpT3_.num_vgpr, 10
	.set _ZL11k_bin_bcastIXadL_ZL9op_repeatffEE6__halffS0_JEEvPKT0_PKT1_PT2_iii15HIP_vector_typeIjLj3EESA_SA_SA_SA_iiiiiiiiiiiDpT3_.num_agpr, 0
	.set _ZL11k_bin_bcastIXadL_ZL9op_repeatffEE6__halffS0_JEEvPKT0_PKT1_PT2_iii15HIP_vector_typeIjLj3EESA_SA_SA_SA_iiiiiiiiiiiDpT3_.numbered_sgpr, 32
	.set _ZL11k_bin_bcastIXadL_ZL9op_repeatffEE6__halffS0_JEEvPKT0_PKT1_PT2_iii15HIP_vector_typeIjLj3EESA_SA_SA_SA_iiiiiiiiiiiDpT3_.num_named_barrier, 0
	.set _ZL11k_bin_bcastIXadL_ZL9op_repeatffEE6__halffS0_JEEvPKT0_PKT1_PT2_iii15HIP_vector_typeIjLj3EESA_SA_SA_SA_iiiiiiiiiiiDpT3_.private_seg_size, 0
	.set _ZL11k_bin_bcastIXadL_ZL9op_repeatffEE6__halffS0_JEEvPKT0_PKT1_PT2_iii15HIP_vector_typeIjLj3EESA_SA_SA_SA_iiiiiiiiiiiDpT3_.uses_vcc, 1
	.set _ZL11k_bin_bcastIXadL_ZL9op_repeatffEE6__halffS0_JEEvPKT0_PKT1_PT2_iii15HIP_vector_typeIjLj3EESA_SA_SA_SA_iiiiiiiiiiiDpT3_.uses_flat_scratch, 0
	.set _ZL11k_bin_bcastIXadL_ZL9op_repeatffEE6__halffS0_JEEvPKT0_PKT1_PT2_iii15HIP_vector_typeIjLj3EESA_SA_SA_SA_iiiiiiiiiiiDpT3_.has_dyn_sized_stack, 0
	.set _ZL11k_bin_bcastIXadL_ZL9op_repeatffEE6__halffS0_JEEvPKT0_PKT1_PT2_iii15HIP_vector_typeIjLj3EESA_SA_SA_SA_iiiiiiiiiiiDpT3_.has_recursion, 0
	.set _ZL11k_bin_bcastIXadL_ZL9op_repeatffEE6__halffS0_JEEvPKT0_PKT1_PT2_iii15HIP_vector_typeIjLj3EESA_SA_SA_SA_iiiiiiiiiiiDpT3_.has_indirect_call, 0
	.section	.AMDGPU.csdata,"",@progbits
; Kernel info:
; codeLenInByte = 548
; TotalNumSgprs: 36
; NumVgprs: 10
; ScratchSize: 0
; MemoryBound: 0
; FloatMode: 240
; IeeeMode: 1
; LDSByteSize: 0 bytes/workgroup (compile time only)
; SGPRBlocks: 4
; VGPRBlocks: 2
; NumSGPRsForWavesPerEU: 36
; NumVGPRsForWavesPerEU: 10
; Occupancy: 10
; WaveLimiterHint : 1
; COMPUTE_PGM_RSRC2:SCRATCH_EN: 0
; COMPUTE_PGM_RSRC2:USER_SGPR: 6
; COMPUTE_PGM_RSRC2:TRAP_HANDLER: 0
; COMPUTE_PGM_RSRC2:TGID_X_EN: 1
; COMPUTE_PGM_RSRC2:TGID_Y_EN: 1
; COMPUTE_PGM_RSRC2:TGID_Z_EN: 1
; COMPUTE_PGM_RSRC2:TIDIG_COMP_CNT: 2
	.section	.text._ZL19k_bin_bcast_unravelIXadL_ZL9op_repeatffEE6__halfffJEEvPKT0_PKT1_PT2_15HIP_vector_typeIjLj3EESA_SA_jSA_SA_SA_SA_SA_SA_iiiiiiiiiiiDpT3_,"axG",@progbits,_ZL19k_bin_bcast_unravelIXadL_ZL9op_repeatffEE6__halfffJEEvPKT0_PKT1_PT2_15HIP_vector_typeIjLj3EESA_SA_jSA_SA_SA_SA_SA_SA_iiiiiiiiiiiDpT3_,comdat
	.globl	_ZL19k_bin_bcast_unravelIXadL_ZL9op_repeatffEE6__halfffJEEvPKT0_PKT1_PT2_15HIP_vector_typeIjLj3EESA_SA_jSA_SA_SA_SA_SA_SA_iiiiiiiiiiiDpT3_ ; -- Begin function _ZL19k_bin_bcast_unravelIXadL_ZL9op_repeatffEE6__halfffJEEvPKT0_PKT1_PT2_15HIP_vector_typeIjLj3EESA_SA_jSA_SA_SA_SA_SA_SA_iiiiiiiiiiiDpT3_
	.p2align	8
	.type	_ZL19k_bin_bcast_unravelIXadL_ZL9op_repeatffEE6__halfffJEEvPKT0_PKT1_PT2_15HIP_vector_typeIjLj3EESA_SA_jSA_SA_SA_SA_SA_SA_iiiiiiiiiiiDpT3_,@function
_ZL19k_bin_bcast_unravelIXadL_ZL9op_repeatffEE6__halfffJEEvPKT0_PKT1_PT2_15HIP_vector_typeIjLj3EESA_SA_jSA_SA_SA_SA_SA_SA_iiiiiiiiiiiDpT3_: ; @_ZL19k_bin_bcast_unravelIXadL_ZL9op_repeatffEE6__halfffJEEvPKT0_PKT1_PT2_15HIP_vector_typeIjLj3EESA_SA_jSA_SA_SA_SA_SA_SA_iiiiiiiiiiiDpT3_
; %bb.0:
	s_load_dword s0, s[4:5], 0xc4
	s_load_dwordx8 s[8:15], s[4:5], 0x38
	s_waitcnt lgkmcnt(0)
	s_and_b32 s0, s0, 0xffff
	s_mul_i32 s6, s6, s0
	v_add_u32_e32 v0, s6, v0
	v_mul_hi_u32 v1, v0, s10
	s_load_dwordx4 s[0:3], s[4:5], 0x18
	s_waitcnt lgkmcnt(0)
	s_load_dword s3, s[4:5], 0x2c
	v_add_u32_e32 v1, v0, v1
	v_lshrrev_b32_e32 v1, s11, v1
	v_mul_lo_u32 v2, v1, s12
	v_sub_u32_e32 v0, v0, v2
	v_mul_hi_u32 v2, v0, s13
	v_add_u32_e32 v2, v0, v2
	v_lshrrev_b32_e32 v2, s14, v2
	v_mul_lo_u32 v3, v2, s15
	v_cmp_gt_u32_e32 vcc, s8, v2
	v_sub_u32_e32 v0, v0, v3
	v_mul_hi_u32 v3, v0, s0
	v_add_u32_e32 v3, v0, v3
	v_lshrrev_b32_e32 v3, s1, v3
	v_mul_lo_u32 v4, v3, s2
	s_waitcnt lgkmcnt(0)
	v_cmp_gt_u32_e64 s[0:1], s3, v3
	v_sub_u32_e32 v0, v0, v4
	v_cmp_gt_u32_e64 s[2:3], s2, v0
	s_and_b64 s[0:1], s[2:3], s[0:1]
	s_and_b64 s[0:1], s[0:1], vcc
	v_cmp_gt_u32_e32 vcc, s9, v1
	s_and_b64 s[0:1], vcc, s[0:1]
	s_and_saveexec_b64 s[2:3], s[0:1]
	s_cbranch_execz .LBB6_2
; %bb.1:
	s_load_dwordx8 s[16:23], s[4:5], 0x58
	s_load_dwordx8 s[8:15], s[4:5], 0x78
	s_load_dwordx4 s[0:3], s[4:5], 0xa4
	s_waitcnt lgkmcnt(0)
	v_mul_hi_u32 v4, s19, v3
	v_mul_hi_u32 v5, s22, v2
	;; [unrolled: 1-line block ×4, first 2 shown]
	v_add_u32_e32 v4, v3, v4
	v_add_u32_e32 v5, v2, v5
	;; [unrolled: 1-line block ×3, first 2 shown]
	v_lshrrev_b32_e32 v4, s20, v4
	v_lshrrev_b32_e32 v5, s23, v5
	;; [unrolled: 1-line block ×3, first 2 shown]
	v_mul_lo_u32 v4, v4, s21
	v_mul_lo_u32 v5, v5, s8
	;; [unrolled: 1-line block ×3, first 2 shown]
	v_add_u32_e32 v7, v0, v7
	v_lshrrev_b32_e32 v7, s17, v7
	v_mul_lo_u32 v7, v7, s18
	v_sub_u32_e32 v4, v3, v4
	v_sub_u32_e32 v5, v2, v5
	;; [unrolled: 1-line block ×3, first 2 shown]
	v_mul_lo_u32 v6, v6, s3
	v_mul_lo_u32 v5, v5, s2
	;; [unrolled: 1-line block ×3, first 2 shown]
	v_sub_u32_e32 v4, v0, v7
	v_mul_lo_u32 v4, v4, s0
	s_load_dwordx4 s[0:3], s[4:5], 0x8
	v_add3_u32 v6, v5, v6, v8
	v_ashrrev_i32_e32 v7, 31, v6
	v_lshlrev_b64 v[6:7], 2, v[6:7]
	v_ashrrev_i32_e32 v5, 31, v4
	s_waitcnt lgkmcnt(0)
	v_mov_b32_e32 v8, s1
	v_add_co_u32_e32 v6, vcc, s0, v6
	v_lshlrev_b64 v[4:5], 2, v[4:5]
	v_addc_co_u32_e32 v7, vcc, v8, v7, vcc
	v_add_co_u32_e32 v4, vcc, v6, v4
	v_addc_co_u32_e32 v5, vcc, v7, v5, vcc
	global_load_dword v5, v[4:5], off
	v_mul_lo_u32 v1, v1, s14
	v_mul_lo_u32 v2, v2, s13
	;; [unrolled: 1-line block ×3, first 2 shown]
	v_add3_u32 v1, v2, v1, v3
	v_mov_b32_e32 v2, 0
	v_lshlrev_b64 v[3:4], 2, v[1:2]
	v_mov_b32_e32 v1, s3
	v_add_co_u32_e32 v3, vcc, s2, v3
	v_addc_co_u32_e32 v4, vcc, v1, v4, vcc
	v_mov_b32_e32 v1, v2
	v_lshlrev_b64 v[0:1], 2, v[0:1]
	v_add_co_u32_e32 v0, vcc, v3, v0
	v_addc_co_u32_e32 v1, vcc, v4, v1, vcc
	s_waitcnt vmcnt(0)
	global_store_dword v[0:1], v5, off
.LBB6_2:
	s_endpgm
	.section	.rodata,"a",@progbits
	.p2align	6, 0x0
	.amdhsa_kernel _ZL19k_bin_bcast_unravelIXadL_ZL9op_repeatffEE6__halfffJEEvPKT0_PKT1_PT2_15HIP_vector_typeIjLj3EESA_SA_jSA_SA_SA_SA_SA_SA_iiiiiiiiiiiDpT3_
		.amdhsa_group_segment_fixed_size 0
		.amdhsa_private_segment_fixed_size 0
		.amdhsa_kernarg_size 440
		.amdhsa_user_sgpr_count 6
		.amdhsa_user_sgpr_private_segment_buffer 1
		.amdhsa_user_sgpr_dispatch_ptr 0
		.amdhsa_user_sgpr_queue_ptr 0
		.amdhsa_user_sgpr_kernarg_segment_ptr 1
		.amdhsa_user_sgpr_dispatch_id 0
		.amdhsa_user_sgpr_flat_scratch_init 0
		.amdhsa_user_sgpr_private_segment_size 0
		.amdhsa_uses_dynamic_stack 0
		.amdhsa_system_sgpr_private_segment_wavefront_offset 0
		.amdhsa_system_sgpr_workgroup_id_x 1
		.amdhsa_system_sgpr_workgroup_id_y 0
		.amdhsa_system_sgpr_workgroup_id_z 0
		.amdhsa_system_sgpr_workgroup_info 0
		.amdhsa_system_vgpr_workitem_id 0
		.amdhsa_next_free_vgpr 9
		.amdhsa_next_free_sgpr 24
		.amdhsa_reserve_vcc 1
		.amdhsa_reserve_flat_scratch 0
		.amdhsa_float_round_mode_32 0
		.amdhsa_float_round_mode_16_64 0
		.amdhsa_float_denorm_mode_32 3
		.amdhsa_float_denorm_mode_16_64 3
		.amdhsa_dx10_clamp 1
		.amdhsa_ieee_mode 1
		.amdhsa_fp16_overflow 0
		.amdhsa_exception_fp_ieee_invalid_op 0
		.amdhsa_exception_fp_denorm_src 0
		.amdhsa_exception_fp_ieee_div_zero 0
		.amdhsa_exception_fp_ieee_overflow 0
		.amdhsa_exception_fp_ieee_underflow 0
		.amdhsa_exception_fp_ieee_inexact 0
		.amdhsa_exception_int_div_zero 0
	.end_amdhsa_kernel
	.section	.text._ZL19k_bin_bcast_unravelIXadL_ZL9op_repeatffEE6__halfffJEEvPKT0_PKT1_PT2_15HIP_vector_typeIjLj3EESA_SA_jSA_SA_SA_SA_SA_SA_iiiiiiiiiiiDpT3_,"axG",@progbits,_ZL19k_bin_bcast_unravelIXadL_ZL9op_repeatffEE6__halfffJEEvPKT0_PKT1_PT2_15HIP_vector_typeIjLj3EESA_SA_jSA_SA_SA_SA_SA_SA_iiiiiiiiiiiDpT3_,comdat
.Lfunc_end6:
	.size	_ZL19k_bin_bcast_unravelIXadL_ZL9op_repeatffEE6__halfffJEEvPKT0_PKT1_PT2_15HIP_vector_typeIjLj3EESA_SA_jSA_SA_SA_SA_SA_SA_iiiiiiiiiiiDpT3_, .Lfunc_end6-_ZL19k_bin_bcast_unravelIXadL_ZL9op_repeatffEE6__halfffJEEvPKT0_PKT1_PT2_15HIP_vector_typeIjLj3EESA_SA_jSA_SA_SA_SA_SA_SA_iiiiiiiiiiiDpT3_
                                        ; -- End function
	.set _ZL19k_bin_bcast_unravelIXadL_ZL9op_repeatffEE6__halfffJEEvPKT0_PKT1_PT2_15HIP_vector_typeIjLj3EESA_SA_jSA_SA_SA_SA_SA_SA_iiiiiiiiiiiDpT3_.num_vgpr, 9
	.set _ZL19k_bin_bcast_unravelIXadL_ZL9op_repeatffEE6__halfffJEEvPKT0_PKT1_PT2_15HIP_vector_typeIjLj3EESA_SA_jSA_SA_SA_SA_SA_SA_iiiiiiiiiiiDpT3_.num_agpr, 0
	.set _ZL19k_bin_bcast_unravelIXadL_ZL9op_repeatffEE6__halfffJEEvPKT0_PKT1_PT2_15HIP_vector_typeIjLj3EESA_SA_jSA_SA_SA_SA_SA_SA_iiiiiiiiiiiDpT3_.numbered_sgpr, 24
	.set _ZL19k_bin_bcast_unravelIXadL_ZL9op_repeatffEE6__halfffJEEvPKT0_PKT1_PT2_15HIP_vector_typeIjLj3EESA_SA_jSA_SA_SA_SA_SA_SA_iiiiiiiiiiiDpT3_.num_named_barrier, 0
	.set _ZL19k_bin_bcast_unravelIXadL_ZL9op_repeatffEE6__halfffJEEvPKT0_PKT1_PT2_15HIP_vector_typeIjLj3EESA_SA_jSA_SA_SA_SA_SA_SA_iiiiiiiiiiiDpT3_.private_seg_size, 0
	.set _ZL19k_bin_bcast_unravelIXadL_ZL9op_repeatffEE6__halfffJEEvPKT0_PKT1_PT2_15HIP_vector_typeIjLj3EESA_SA_jSA_SA_SA_SA_SA_SA_iiiiiiiiiiiDpT3_.uses_vcc, 1
	.set _ZL19k_bin_bcast_unravelIXadL_ZL9op_repeatffEE6__halfffJEEvPKT0_PKT1_PT2_15HIP_vector_typeIjLj3EESA_SA_jSA_SA_SA_SA_SA_SA_iiiiiiiiiiiDpT3_.uses_flat_scratch, 0
	.set _ZL19k_bin_bcast_unravelIXadL_ZL9op_repeatffEE6__halfffJEEvPKT0_PKT1_PT2_15HIP_vector_typeIjLj3EESA_SA_jSA_SA_SA_SA_SA_SA_iiiiiiiiiiiDpT3_.has_dyn_sized_stack, 0
	.set _ZL19k_bin_bcast_unravelIXadL_ZL9op_repeatffEE6__halfffJEEvPKT0_PKT1_PT2_15HIP_vector_typeIjLj3EESA_SA_jSA_SA_SA_SA_SA_SA_iiiiiiiiiiiDpT3_.has_recursion, 0
	.set _ZL19k_bin_bcast_unravelIXadL_ZL9op_repeatffEE6__halfffJEEvPKT0_PKT1_PT2_15HIP_vector_typeIjLj3EESA_SA_jSA_SA_SA_SA_SA_SA_iiiiiiiiiiiDpT3_.has_indirect_call, 0
	.section	.AMDGPU.csdata,"",@progbits
; Kernel info:
; codeLenInByte = 524
; TotalNumSgprs: 28
; NumVgprs: 9
; ScratchSize: 0
; MemoryBound: 0
; FloatMode: 240
; IeeeMode: 1
; LDSByteSize: 0 bytes/workgroup (compile time only)
; SGPRBlocks: 3
; VGPRBlocks: 2
; NumSGPRsForWavesPerEU: 28
; NumVGPRsForWavesPerEU: 9
; Occupancy: 10
; WaveLimiterHint : 1
; COMPUTE_PGM_RSRC2:SCRATCH_EN: 0
; COMPUTE_PGM_RSRC2:USER_SGPR: 6
; COMPUTE_PGM_RSRC2:TRAP_HANDLER: 0
; COMPUTE_PGM_RSRC2:TGID_X_EN: 1
; COMPUTE_PGM_RSRC2:TGID_Y_EN: 0
; COMPUTE_PGM_RSRC2:TGID_Z_EN: 0
; COMPUTE_PGM_RSRC2:TIDIG_COMP_CNT: 0
	.section	.text._ZL11k_bin_bcastIXadL_ZL9op_repeatffEE6__halfffJEEvPKT0_PKT1_PT2_iii15HIP_vector_typeIjLj3EESA_SA_SA_SA_iiiiiiiiiiiDpT3_,"axG",@progbits,_ZL11k_bin_bcastIXadL_ZL9op_repeatffEE6__halfffJEEvPKT0_PKT1_PT2_iii15HIP_vector_typeIjLj3EESA_SA_SA_SA_iiiiiiiiiiiDpT3_,comdat
	.globl	_ZL11k_bin_bcastIXadL_ZL9op_repeatffEE6__halfffJEEvPKT0_PKT1_PT2_iii15HIP_vector_typeIjLj3EESA_SA_SA_SA_iiiiiiiiiiiDpT3_ ; -- Begin function _ZL11k_bin_bcastIXadL_ZL9op_repeatffEE6__halfffJEEvPKT0_PKT1_PT2_iii15HIP_vector_typeIjLj3EESA_SA_SA_SA_iiiiiiiiiiiDpT3_
	.p2align	8
	.type	_ZL11k_bin_bcastIXadL_ZL9op_repeatffEE6__halfffJEEvPKT0_PKT1_PT2_iii15HIP_vector_typeIjLj3EESA_SA_SA_SA_iiiiiiiiiiiDpT3_,@function
_ZL11k_bin_bcastIXadL_ZL9op_repeatffEE6__halfffJEEvPKT0_PKT1_PT2_iii15HIP_vector_typeIjLj3EESA_SA_SA_SA_iiiiiiiiiiiDpT3_: ; @_ZL11k_bin_bcastIXadL_ZL9op_repeatffEE6__halfffJEEvPKT0_PKT1_PT2_iii15HIP_vector_typeIjLj3EESA_SA_SA_SA_iiiiiiiiiiiDpT3_
; %bb.0:
	s_load_dwordx2 s[0:1], s[4:5], 0x9c
	s_load_dwordx8 s[12:19], s[4:5], 0x18
	s_add_u32 s2, s4, 0x90
	s_addc_u32 s3, s5, 0
	s_waitcnt lgkmcnt(0)
	s_and_b32 s1, s1, 0xffff
	s_mul_i32 s8, s8, s1
	v_add_u32_e32 v2, s8, v2
	v_mul_hi_u32 v3, v2, s15
	s_lshr_b32 s1, s0, 16
	s_and_b32 s15, s0, 0xffff
	s_mul_i32 s6, s6, s15
	v_add_u32_e32 v3, v2, v3
	v_lshrrev_b32_e32 v5, s16, v3
	v_mul_lo_u32 v4, v5, s17
	s_mul_i32 s7, s7, s1
	v_add_u32_e32 v0, s6, v0
	v_add_u32_e32 v3, s7, v1
	v_cmp_gt_u32_e32 vcc, s12, v0
	v_cmp_gt_u32_e64 s[0:1], s13, v3
	v_sub_u32_e32 v4, v2, v4
	s_and_b64 s[0:1], vcc, s[0:1]
	v_cmp_gt_u32_e32 vcc, s14, v5
	s_and_b64 s[0:1], s[0:1], vcc
	v_cmp_gt_u32_e32 vcc, s17, v4
	s_and_b64 s[0:1], s[0:1], vcc
	s_and_saveexec_b64 s[6:7], s[0:1]
	s_cbranch_execz .LBB7_4
; %bb.1:
	v_cmp_gt_i32_e32 vcc, s12, v0
	s_and_b64 exec, exec, vcc
	s_cbranch_execz .LBB7_4
; %bb.2:
	s_load_dwordx4 s[8:11], s[4:5], 0x60
	s_load_dwordx8 s[20:27], s[4:5], 0x3c
	s_load_dword s0, s[4:5], 0x5c
	s_load_dword s1, s[4:5], 0x38
	s_load_dwordx4 s[28:31], s[4:5], 0x8
	s_load_dword s6, s[2:3], 0x0
	s_mov_b64 s[2:3], 0
	s_waitcnt lgkmcnt(0)
	v_mul_lo_u32 v1, v4, s10
	v_mul_lo_u32 v2, v5, s9
	;; [unrolled: 1-line block ×3, first 2 shown]
	v_mul_hi_u32 v8, s23, v5
	v_mul_hi_u32 v9, s26, v4
	s_load_dwordx4 s[8:11], s[4:5], 0x7c
	v_add3_u32 v1, v2, v6, v1
	v_mov_b32_e32 v2, 0
	v_lshlrev_b64 v[6:7], 2, v[1:2]
	v_add_u32_e32 v1, v5, v8
	v_lshrrev_b32_e32 v1, s24, v1
	v_mul_lo_u32 v1, v1, s25
	v_add_u32_e32 v9, v4, v9
	v_lshrrev_b32_e32 v9, s27, v9
	v_mul_lo_u32 v9, v9, s0
	v_sub_u32_e32 v1, v5, v1
	v_mul_hi_u32 v5, s20, v3
	s_waitcnt lgkmcnt(0)
	v_mul_lo_u32 v1, v1, s10
	v_sub_u32_e32 v4, v4, v9
	v_mul_lo_u32 v9, v4, s11
	v_add_u32_e32 v5, v3, v5
	v_lshrrev_b32_e32 v5, s21, v5
	v_mul_lo_u32 v5, v5, s22
	v_mov_b32_e32 v8, s31
	s_mul_i32 s4, s6, s15
	s_sub_i32 s5, 0, s1
	v_sub_u32_e32 v3, v3, v5
	v_mul_lo_u32 v5, v3, s9
	v_add_co_u32_e32 v3, vcc, s30, v6
	v_addc_co_u32_e32 v4, vcc, v8, v7, vcc
	v_add3_u32 v1, v1, v9, v5
	v_lshlrev_b64 v[5:6], 2, v[1:2]
	v_mov_b32_e32 v1, s29
	v_add_co_u32_e32 v5, vcc, s28, v5
	v_addc_co_u32_e32 v6, vcc, v1, v6, vcc
.LBB7_3:                                ; =>This Inner Loop Header: Depth=1
	v_mul_hi_u32 v1, s18, v0
	v_add_u32_e32 v1, v0, v1
	v_lshrrev_b32_e32 v1, s19, v1
	v_mad_u64_u32 v[7:8], s[0:1], s5, v1, v[0:1]
	v_mul_lo_u32 v1, v7, s8
	v_lshlrev_b64 v[7:8], 2, v[1:2]
	v_ashrrev_i32_e32 v1, 31, v0
	v_add_co_u32_e32 v7, vcc, v5, v7
	v_addc_co_u32_e32 v8, vcc, v6, v8, vcc
	global_load_dword v9, v[7:8], off
	v_lshlrev_b64 v[7:8], 2, v[0:1]
	v_add_u32_e32 v0, s4, v0
	v_cmp_le_i32_e32 vcc, s12, v0
	v_add_co_u32_e64 v7, s[0:1], v3, v7
	v_addc_co_u32_e64 v8, s[0:1], v4, v8, s[0:1]
	s_or_b64 s[2:3], vcc, s[2:3]
	s_waitcnt vmcnt(0)
	global_store_dword v[7:8], v9, off
	s_andn2_b64 exec, exec, s[2:3]
	s_cbranch_execnz .LBB7_3
.LBB7_4:
	s_endpgm
	.section	.rodata,"a",@progbits
	.p2align	6, 0x0
	.amdhsa_kernel _ZL11k_bin_bcastIXadL_ZL9op_repeatffEE6__halfffJEEvPKT0_PKT1_PT2_iii15HIP_vector_typeIjLj3EESA_SA_SA_SA_iiiiiiiiiiiDpT3_
		.amdhsa_group_segment_fixed_size 0
		.amdhsa_private_segment_fixed_size 0
		.amdhsa_kernarg_size 400
		.amdhsa_user_sgpr_count 6
		.amdhsa_user_sgpr_private_segment_buffer 1
		.amdhsa_user_sgpr_dispatch_ptr 0
		.amdhsa_user_sgpr_queue_ptr 0
		.amdhsa_user_sgpr_kernarg_segment_ptr 1
		.amdhsa_user_sgpr_dispatch_id 0
		.amdhsa_user_sgpr_flat_scratch_init 0
		.amdhsa_user_sgpr_private_segment_size 0
		.amdhsa_uses_dynamic_stack 0
		.amdhsa_system_sgpr_private_segment_wavefront_offset 0
		.amdhsa_system_sgpr_workgroup_id_x 1
		.amdhsa_system_sgpr_workgroup_id_y 1
		.amdhsa_system_sgpr_workgroup_id_z 1
		.amdhsa_system_sgpr_workgroup_info 0
		.amdhsa_system_vgpr_workitem_id 2
		.amdhsa_next_free_vgpr 10
		.amdhsa_next_free_sgpr 32
		.amdhsa_reserve_vcc 1
		.amdhsa_reserve_flat_scratch 0
		.amdhsa_float_round_mode_32 0
		.amdhsa_float_round_mode_16_64 0
		.amdhsa_float_denorm_mode_32 3
		.amdhsa_float_denorm_mode_16_64 3
		.amdhsa_dx10_clamp 1
		.amdhsa_ieee_mode 1
		.amdhsa_fp16_overflow 0
		.amdhsa_exception_fp_ieee_invalid_op 0
		.amdhsa_exception_fp_denorm_src 0
		.amdhsa_exception_fp_ieee_div_zero 0
		.amdhsa_exception_fp_ieee_overflow 0
		.amdhsa_exception_fp_ieee_underflow 0
		.amdhsa_exception_fp_ieee_inexact 0
		.amdhsa_exception_int_div_zero 0
	.end_amdhsa_kernel
	.section	.text._ZL11k_bin_bcastIXadL_ZL9op_repeatffEE6__halfffJEEvPKT0_PKT1_PT2_iii15HIP_vector_typeIjLj3EESA_SA_SA_SA_iiiiiiiiiiiDpT3_,"axG",@progbits,_ZL11k_bin_bcastIXadL_ZL9op_repeatffEE6__halfffJEEvPKT0_PKT1_PT2_iii15HIP_vector_typeIjLj3EESA_SA_SA_SA_iiiiiiiiiiiDpT3_,comdat
.Lfunc_end7:
	.size	_ZL11k_bin_bcastIXadL_ZL9op_repeatffEE6__halfffJEEvPKT0_PKT1_PT2_iii15HIP_vector_typeIjLj3EESA_SA_SA_SA_iiiiiiiiiiiDpT3_, .Lfunc_end7-_ZL11k_bin_bcastIXadL_ZL9op_repeatffEE6__halfffJEEvPKT0_PKT1_PT2_iii15HIP_vector_typeIjLj3EESA_SA_SA_SA_iiiiiiiiiiiDpT3_
                                        ; -- End function
	.set _ZL11k_bin_bcastIXadL_ZL9op_repeatffEE6__halfffJEEvPKT0_PKT1_PT2_iii15HIP_vector_typeIjLj3EESA_SA_SA_SA_iiiiiiiiiiiDpT3_.num_vgpr, 10
	.set _ZL11k_bin_bcastIXadL_ZL9op_repeatffEE6__halfffJEEvPKT0_PKT1_PT2_iii15HIP_vector_typeIjLj3EESA_SA_SA_SA_iiiiiiiiiiiDpT3_.num_agpr, 0
	.set _ZL11k_bin_bcastIXadL_ZL9op_repeatffEE6__halfffJEEvPKT0_PKT1_PT2_iii15HIP_vector_typeIjLj3EESA_SA_SA_SA_iiiiiiiiiiiDpT3_.numbered_sgpr, 32
	.set _ZL11k_bin_bcastIXadL_ZL9op_repeatffEE6__halfffJEEvPKT0_PKT1_PT2_iii15HIP_vector_typeIjLj3EESA_SA_SA_SA_iiiiiiiiiiiDpT3_.num_named_barrier, 0
	.set _ZL11k_bin_bcastIXadL_ZL9op_repeatffEE6__halfffJEEvPKT0_PKT1_PT2_iii15HIP_vector_typeIjLj3EESA_SA_SA_SA_iiiiiiiiiiiDpT3_.private_seg_size, 0
	.set _ZL11k_bin_bcastIXadL_ZL9op_repeatffEE6__halfffJEEvPKT0_PKT1_PT2_iii15HIP_vector_typeIjLj3EESA_SA_SA_SA_iiiiiiiiiiiDpT3_.uses_vcc, 1
	.set _ZL11k_bin_bcastIXadL_ZL9op_repeatffEE6__halfffJEEvPKT0_PKT1_PT2_iii15HIP_vector_typeIjLj3EESA_SA_SA_SA_iiiiiiiiiiiDpT3_.uses_flat_scratch, 0
	.set _ZL11k_bin_bcastIXadL_ZL9op_repeatffEE6__halfffJEEvPKT0_PKT1_PT2_iii15HIP_vector_typeIjLj3EESA_SA_SA_SA_iiiiiiiiiiiDpT3_.has_dyn_sized_stack, 0
	.set _ZL11k_bin_bcastIXadL_ZL9op_repeatffEE6__halfffJEEvPKT0_PKT1_PT2_iii15HIP_vector_typeIjLj3EESA_SA_SA_SA_iiiiiiiiiiiDpT3_.has_recursion, 0
	.set _ZL11k_bin_bcastIXadL_ZL9op_repeatffEE6__halfffJEEvPKT0_PKT1_PT2_iii15HIP_vector_typeIjLj3EESA_SA_SA_SA_iiiiiiiiiiiDpT3_.has_indirect_call, 0
	.section	.AMDGPU.csdata,"",@progbits
; Kernel info:
; codeLenInByte = 544
; TotalNumSgprs: 36
; NumVgprs: 10
; ScratchSize: 0
; MemoryBound: 0
; FloatMode: 240
; IeeeMode: 1
; LDSByteSize: 0 bytes/workgroup (compile time only)
; SGPRBlocks: 4
; VGPRBlocks: 2
; NumSGPRsForWavesPerEU: 36
; NumVGPRsForWavesPerEU: 10
; Occupancy: 10
; WaveLimiterHint : 1
; COMPUTE_PGM_RSRC2:SCRATCH_EN: 0
; COMPUTE_PGM_RSRC2:USER_SGPR: 6
; COMPUTE_PGM_RSRC2:TRAP_HANDLER: 0
; COMPUTE_PGM_RSRC2:TGID_X_EN: 1
; COMPUTE_PGM_RSRC2:TGID_Y_EN: 1
; COMPUTE_PGM_RSRC2:TGID_Z_EN: 1
; COMPUTE_PGM_RSRC2:TIDIG_COMP_CNT: 2
	.section	.text._ZL19k_bin_bcast_unravelIXadL_ZL6op_addffEEfffJPKfEEvPKT0_PKT1_PT2_15HIP_vector_typeIjLj3EESB_SB_jSB_SB_SB_SB_SB_SB_iiiiiiiiiiiDpT3_,"axG",@progbits,_ZL19k_bin_bcast_unravelIXadL_ZL6op_addffEEfffJPKfEEvPKT0_PKT1_PT2_15HIP_vector_typeIjLj3EESB_SB_jSB_SB_SB_SB_SB_SB_iiiiiiiiiiiDpT3_,comdat
	.globl	_ZL19k_bin_bcast_unravelIXadL_ZL6op_addffEEfffJPKfEEvPKT0_PKT1_PT2_15HIP_vector_typeIjLj3EESB_SB_jSB_SB_SB_SB_SB_SB_iiiiiiiiiiiDpT3_ ; -- Begin function _ZL19k_bin_bcast_unravelIXadL_ZL6op_addffEEfffJPKfEEvPKT0_PKT1_PT2_15HIP_vector_typeIjLj3EESB_SB_jSB_SB_SB_SB_SB_SB_iiiiiiiiiiiDpT3_
	.p2align	8
	.type	_ZL19k_bin_bcast_unravelIXadL_ZL6op_addffEEfffJPKfEEvPKT0_PKT1_PT2_15HIP_vector_typeIjLj3EESB_SB_jSB_SB_SB_SB_SB_SB_iiiiiiiiiiiDpT3_,@function
_ZL19k_bin_bcast_unravelIXadL_ZL6op_addffEEfffJPKfEEvPKT0_PKT1_PT2_15HIP_vector_typeIjLj3EESB_SB_jSB_SB_SB_SB_SB_SB_iiiiiiiiiiiDpT3_: ; @_ZL19k_bin_bcast_unravelIXadL_ZL6op_addffEEfffJPKfEEvPKT0_PKT1_PT2_15HIP_vector_typeIjLj3EESB_SB_jSB_SB_SB_SB_SB_SB_iiiiiiiiiiiDpT3_
; %bb.0:
	s_load_dword s0, s[4:5], 0xcc
	s_load_dwordx8 s[8:15], s[4:5], 0x38
	s_waitcnt lgkmcnt(0)
	s_and_b32 s0, s0, 0xffff
	s_mul_i32 s6, s6, s0
	v_add_u32_e32 v0, s6, v0
	v_mul_hi_u32 v1, v0, s10
	s_load_dwordx4 s[0:3], s[4:5], 0x18
	s_waitcnt lgkmcnt(0)
	s_load_dword s3, s[4:5], 0x2c
	v_add_u32_e32 v1, v0, v1
	v_lshrrev_b32_e32 v1, s11, v1
	v_mul_lo_u32 v2, v1, s12
	v_sub_u32_e32 v0, v0, v2
	v_mul_hi_u32 v2, v0, s13
	v_add_u32_e32 v2, v0, v2
	v_lshrrev_b32_e32 v3, s14, v2
	v_mul_lo_u32 v2, v3, s15
	v_cmp_gt_u32_e32 vcc, s8, v3
	v_sub_u32_e32 v0, v0, v2
	v_mul_hi_u32 v2, v0, s0
	v_add_u32_e32 v2, v0, v2
	v_lshrrev_b32_e32 v4, s1, v2
	v_mul_lo_u32 v2, v4, s2
	s_waitcnt lgkmcnt(0)
	v_cmp_gt_u32_e64 s[0:1], s3, v4
	v_sub_u32_e32 v0, v0, v2
	v_cmp_gt_u32_e64 s[2:3], s2, v0
	s_and_b64 s[0:1], s[2:3], s[0:1]
	s_and_b64 s[0:1], s[0:1], vcc
	v_cmp_gt_u32_e32 vcc, s9, v1
	s_and_b64 s[0:1], vcc, s[0:1]
	s_and_saveexec_b64 s[2:3], s[0:1]
	s_cbranch_execz .LBB8_4
; %bb.1:
	s_load_dwordx2 s[6:7], s[4:5], 0x0
	s_load_dwordx4 s[0:3], s[4:5], 0xa8
	s_load_dwordx8 s[8:15], s[4:5], 0x88
	s_load_dwordx4 s[24:27], s[4:5], 0x78
	s_load_dwordx8 s[16:23], s[4:5], 0x58
	v_mov_b32_e32 v2, 0
	s_waitcnt lgkmcnt(0)
	s_cmp_eq_u64 s[6:7], 0
	v_mov_b32_e32 v5, 0
	s_cbranch_scc1 .LBB8_3
; %bb.2:
	v_mul_lo_u32 v5, v1, s14
	v_mul_lo_u32 v7, v3, s13
	;; [unrolled: 1-line block ×3, first 2 shown]
	v_mov_b32_e32 v6, 0
	v_mov_b32_e32 v9, s7
	v_add3_u32 v5, v7, v5, v8
	v_lshlrev_b64 v[7:8], 2, v[5:6]
	v_mul_lo_u32 v5, v0, s11
	v_add_co_u32_e32 v7, vcc, s6, v7
	v_addc_co_u32_e32 v8, vcc, v9, v8, vcc
	v_lshlrev_b64 v[5:6], 2, v[5:6]
	v_add_co_u32_e32 v5, vcc, v7, v5
	v_addc_co_u32_e32 v6, vcc, v8, v6, vcc
	global_load_dword v5, v[5:6], off
.LBB8_3:
	v_mul_hi_u32 v6, s19, v4
	v_mul_hi_u32 v7, s22, v3
	;; [unrolled: 1-line block ×4, first 2 shown]
	v_add_u32_e32 v6, v4, v6
	v_add_u32_e32 v7, v3, v7
	;; [unrolled: 1-line block ×3, first 2 shown]
	v_lshrrev_b32_e32 v6, s20, v6
	v_lshrrev_b32_e32 v7, s23, v7
	v_lshrrev_b32_e32 v8, s26, v8
	v_mul_lo_u32 v6, v6, s21
	v_mul_lo_u32 v7, v7, s24
	;; [unrolled: 1-line block ×3, first 2 shown]
	v_add_u32_e32 v9, v0, v9
	v_lshrrev_b32_e32 v9, s17, v9
	v_mul_lo_u32 v9, v9, s18
	v_sub_u32_e32 v6, v4, v6
	v_sub_u32_e32 v7, v3, v7
	;; [unrolled: 1-line block ×3, first 2 shown]
	v_mul_lo_u32 v8, v8, s2
	v_mul_lo_u32 v7, v7, s1
	;; [unrolled: 1-line block ×3, first 2 shown]
	v_sub_u32_e32 v6, v0, v9
	v_mul_lo_u32 v6, v6, s15
	s_load_dwordx2 s[0:1], s[4:5], 0xb8
	v_add3_u32 v8, v7, v8, v10
	v_ashrrev_i32_e32 v9, 31, v8
	v_lshlrev_b64 v[8:9], 2, v[8:9]
	v_ashrrev_i32_e32 v7, 31, v6
	s_waitcnt lgkmcnt(0)
	v_mov_b32_e32 v10, s1
	v_add_co_u32_e32 v8, vcc, s0, v8
	v_lshlrev_b64 v[6:7], 2, v[6:7]
	v_addc_co_u32_e32 v9, vcc, v10, v9, vcc
	v_add_co_u32_e32 v6, vcc, v8, v6
	v_addc_co_u32_e32 v7, vcc, v9, v7, vcc
	global_load_dword v6, v[6:7], off
	v_mul_lo_u32 v7, v1, s10
	v_mul_lo_u32 v8, v3, s9
	;; [unrolled: 1-line block ×3, first 2 shown]
	s_load_dwordx2 s[0:1], s[4:5], 0x10
	v_mov_b32_e32 v1, v2
	v_lshlrev_b64 v[3:4], 2, v[0:1]
	v_add3_u32 v1, v8, v7, v9
	v_lshlrev_b64 v[0:1], 2, v[1:2]
	s_waitcnt lgkmcnt(0)
	v_mov_b32_e32 v2, s1
	v_add_co_u32_e32 v0, vcc, s0, v0
	v_addc_co_u32_e32 v1, vcc, v2, v1, vcc
	v_add_co_u32_e32 v0, vcc, v0, v3
	v_addc_co_u32_e32 v1, vcc, v1, v4, vcc
	s_waitcnt vmcnt(0)
	v_add_f32_e32 v2, v5, v6
	global_store_dword v[0:1], v2, off
.LBB8_4:
	s_endpgm
	.section	.rodata,"a",@progbits
	.p2align	6, 0x0
	.amdhsa_kernel _ZL19k_bin_bcast_unravelIXadL_ZL6op_addffEEfffJPKfEEvPKT0_PKT1_PT2_15HIP_vector_typeIjLj3EESB_SB_jSB_SB_SB_SB_SB_SB_iiiiiiiiiiiDpT3_
		.amdhsa_group_segment_fixed_size 0
		.amdhsa_private_segment_fixed_size 0
		.amdhsa_kernarg_size 448
		.amdhsa_user_sgpr_count 6
		.amdhsa_user_sgpr_private_segment_buffer 1
		.amdhsa_user_sgpr_dispatch_ptr 0
		.amdhsa_user_sgpr_queue_ptr 0
		.amdhsa_user_sgpr_kernarg_segment_ptr 1
		.amdhsa_user_sgpr_dispatch_id 0
		.amdhsa_user_sgpr_flat_scratch_init 0
		.amdhsa_user_sgpr_private_segment_size 0
		.amdhsa_uses_dynamic_stack 0
		.amdhsa_system_sgpr_private_segment_wavefront_offset 0
		.amdhsa_system_sgpr_workgroup_id_x 1
		.amdhsa_system_sgpr_workgroup_id_y 0
		.amdhsa_system_sgpr_workgroup_id_z 0
		.amdhsa_system_sgpr_workgroup_info 0
		.amdhsa_system_vgpr_workitem_id 0
		.amdhsa_next_free_vgpr 11
		.amdhsa_next_free_sgpr 28
		.amdhsa_reserve_vcc 1
		.amdhsa_reserve_flat_scratch 0
		.amdhsa_float_round_mode_32 0
		.amdhsa_float_round_mode_16_64 0
		.amdhsa_float_denorm_mode_32 3
		.amdhsa_float_denorm_mode_16_64 3
		.amdhsa_dx10_clamp 1
		.amdhsa_ieee_mode 1
		.amdhsa_fp16_overflow 0
		.amdhsa_exception_fp_ieee_invalid_op 0
		.amdhsa_exception_fp_denorm_src 0
		.amdhsa_exception_fp_ieee_div_zero 0
		.amdhsa_exception_fp_ieee_overflow 0
		.amdhsa_exception_fp_ieee_underflow 0
		.amdhsa_exception_fp_ieee_inexact 0
		.amdhsa_exception_int_div_zero 0
	.end_amdhsa_kernel
	.section	.text._ZL19k_bin_bcast_unravelIXadL_ZL6op_addffEEfffJPKfEEvPKT0_PKT1_PT2_15HIP_vector_typeIjLj3EESB_SB_jSB_SB_SB_SB_SB_SB_iiiiiiiiiiiDpT3_,"axG",@progbits,_ZL19k_bin_bcast_unravelIXadL_ZL6op_addffEEfffJPKfEEvPKT0_PKT1_PT2_15HIP_vector_typeIjLj3EESB_SB_jSB_SB_SB_SB_SB_SB_iiiiiiiiiiiDpT3_,comdat
.Lfunc_end8:
	.size	_ZL19k_bin_bcast_unravelIXadL_ZL6op_addffEEfffJPKfEEvPKT0_PKT1_PT2_15HIP_vector_typeIjLj3EESB_SB_jSB_SB_SB_SB_SB_SB_iiiiiiiiiiiDpT3_, .Lfunc_end8-_ZL19k_bin_bcast_unravelIXadL_ZL6op_addffEEfffJPKfEEvPKT0_PKT1_PT2_15HIP_vector_typeIjLj3EESB_SB_jSB_SB_SB_SB_SB_SB_iiiiiiiiiiiDpT3_
                                        ; -- End function
	.set _ZL19k_bin_bcast_unravelIXadL_ZL6op_addffEEfffJPKfEEvPKT0_PKT1_PT2_15HIP_vector_typeIjLj3EESB_SB_jSB_SB_SB_SB_SB_SB_iiiiiiiiiiiDpT3_.num_vgpr, 11
	.set _ZL19k_bin_bcast_unravelIXadL_ZL6op_addffEEfffJPKfEEvPKT0_PKT1_PT2_15HIP_vector_typeIjLj3EESB_SB_jSB_SB_SB_SB_SB_SB_iiiiiiiiiiiDpT3_.num_agpr, 0
	.set _ZL19k_bin_bcast_unravelIXadL_ZL6op_addffEEfffJPKfEEvPKT0_PKT1_PT2_15HIP_vector_typeIjLj3EESB_SB_jSB_SB_SB_SB_SB_SB_iiiiiiiiiiiDpT3_.numbered_sgpr, 28
	.set _ZL19k_bin_bcast_unravelIXadL_ZL6op_addffEEfffJPKfEEvPKT0_PKT1_PT2_15HIP_vector_typeIjLj3EESB_SB_jSB_SB_SB_SB_SB_SB_iiiiiiiiiiiDpT3_.num_named_barrier, 0
	.set _ZL19k_bin_bcast_unravelIXadL_ZL6op_addffEEfffJPKfEEvPKT0_PKT1_PT2_15HIP_vector_typeIjLj3EESB_SB_jSB_SB_SB_SB_SB_SB_iiiiiiiiiiiDpT3_.private_seg_size, 0
	.set _ZL19k_bin_bcast_unravelIXadL_ZL6op_addffEEfffJPKfEEvPKT0_PKT1_PT2_15HIP_vector_typeIjLj3EESB_SB_jSB_SB_SB_SB_SB_SB_iiiiiiiiiiiDpT3_.uses_vcc, 1
	.set _ZL19k_bin_bcast_unravelIXadL_ZL6op_addffEEfffJPKfEEvPKT0_PKT1_PT2_15HIP_vector_typeIjLj3EESB_SB_jSB_SB_SB_SB_SB_SB_iiiiiiiiiiiDpT3_.uses_flat_scratch, 0
	.set _ZL19k_bin_bcast_unravelIXadL_ZL6op_addffEEfffJPKfEEvPKT0_PKT1_PT2_15HIP_vector_typeIjLj3EESB_SB_jSB_SB_SB_SB_SB_SB_iiiiiiiiiiiDpT3_.has_dyn_sized_stack, 0
	.set _ZL19k_bin_bcast_unravelIXadL_ZL6op_addffEEfffJPKfEEvPKT0_PKT1_PT2_15HIP_vector_typeIjLj3EESB_SB_jSB_SB_SB_SB_SB_SB_iiiiiiiiiiiDpT3_.has_recursion, 0
	.set _ZL19k_bin_bcast_unravelIXadL_ZL6op_addffEEfffJPKfEEvPKT0_PKT1_PT2_15HIP_vector_typeIjLj3EESB_SB_jSB_SB_SB_SB_SB_SB_iiiiiiiiiiiDpT3_.has_indirect_call, 0
	.section	.AMDGPU.csdata,"",@progbits
; Kernel info:
; codeLenInByte = 656
; TotalNumSgprs: 32
; NumVgprs: 11
; ScratchSize: 0
; MemoryBound: 0
; FloatMode: 240
; IeeeMode: 1
; LDSByteSize: 0 bytes/workgroup (compile time only)
; SGPRBlocks: 3
; VGPRBlocks: 2
; NumSGPRsForWavesPerEU: 32
; NumVGPRsForWavesPerEU: 11
; Occupancy: 10
; WaveLimiterHint : 1
; COMPUTE_PGM_RSRC2:SCRATCH_EN: 0
; COMPUTE_PGM_RSRC2:USER_SGPR: 6
; COMPUTE_PGM_RSRC2:TRAP_HANDLER: 0
; COMPUTE_PGM_RSRC2:TGID_X_EN: 1
; COMPUTE_PGM_RSRC2:TGID_Y_EN: 0
; COMPUTE_PGM_RSRC2:TGID_Z_EN: 0
; COMPUTE_PGM_RSRC2:TIDIG_COMP_CNT: 0
	.section	.text._ZL11k_bin_bcastIXadL_ZL6op_addffEEfffJPKfEEvPKT0_PKT1_PT2_iii15HIP_vector_typeIjLj3EESB_SB_SB_SB_iiiiiiiiiiiDpT3_,"axG",@progbits,_ZL11k_bin_bcastIXadL_ZL6op_addffEEfffJPKfEEvPKT0_PKT1_PT2_iii15HIP_vector_typeIjLj3EESB_SB_SB_SB_iiiiiiiiiiiDpT3_,comdat
	.globl	_ZL11k_bin_bcastIXadL_ZL6op_addffEEfffJPKfEEvPKT0_PKT1_PT2_iii15HIP_vector_typeIjLj3EESB_SB_SB_SB_iiiiiiiiiiiDpT3_ ; -- Begin function _ZL11k_bin_bcastIXadL_ZL6op_addffEEfffJPKfEEvPKT0_PKT1_PT2_iii15HIP_vector_typeIjLj3EESB_SB_SB_SB_iiiiiiiiiiiDpT3_
	.p2align	8
	.type	_ZL11k_bin_bcastIXadL_ZL6op_addffEEfffJPKfEEvPKT0_PKT1_PT2_iii15HIP_vector_typeIjLj3EESB_SB_SB_SB_iiiiiiiiiiiDpT3_,@function
_ZL11k_bin_bcastIXadL_ZL6op_addffEEfffJPKfEEvPKT0_PKT1_PT2_iii15HIP_vector_typeIjLj3EESB_SB_SB_SB_iiiiiiiiiiiDpT3_: ; @_ZL11k_bin_bcastIXadL_ZL6op_addffEEfffJPKfEEvPKT0_PKT1_PT2_iii15HIP_vector_typeIjLj3EESB_SB_SB_SB_iiiiiiiiiiiDpT3_
; %bb.0:
	s_load_dwordx2 s[0:1], s[4:5], 0xa4
	s_load_dwordx8 s[12:19], s[4:5], 0x18
	s_add_u32 s2, s4, 0x98
	s_addc_u32 s3, s5, 0
	s_waitcnt lgkmcnt(0)
	s_and_b32 s1, s1, 0xffff
	s_mul_i32 s8, s8, s1
	v_add_u32_e32 v2, s8, v2
	v_mul_hi_u32 v3, v2, s15
	s_lshr_b32 s1, s0, 16
	s_and_b32 s8, s0, 0xffff
	s_mul_i32 s6, s6, s8
	v_add_u32_e32 v3, v2, v3
	v_lshrrev_b32_e32 v7, s16, v3
	v_mul_lo_u32 v4, v7, s17
	s_mul_i32 s7, s7, s1
	v_add_u32_e32 v0, s6, v0
	v_add_u32_e32 v3, s7, v1
	v_cmp_gt_u32_e32 vcc, s12, v0
	v_cmp_gt_u32_e64 s[0:1], s13, v3
	v_sub_u32_e32 v4, v2, v4
	s_and_b64 s[0:1], vcc, s[0:1]
	v_cmp_gt_u32_e32 vcc, s14, v7
	s_and_b64 s[0:1], s[0:1], vcc
	v_cmp_gt_u32_e32 vcc, s17, v4
	s_and_b64 s[0:1], s[0:1], vcc
	s_and_saveexec_b64 s[6:7], s[0:1]
	s_cbranch_execz .LBB9_6
; %bb.1:
	v_cmp_gt_i32_e32 vcc, s12, v0
	s_and_b64 exec, exec, vcc
	s_cbranch_execz .LBB9_6
; %bb.2:
	s_load_dwordx8 s[20:27], s[4:5], 0x60
	s_load_dword s9, s[2:3], 0x0
	s_load_dwordx2 s[6:7], s[4:5], 0x0
	s_load_dwordx8 s[36:43], s[4:5], 0x3c
	s_load_dword s13, s[4:5], 0x38
	s_load_dwordx2 s[10:11], s[4:5], 0x10
	s_nop 0
	s_load_dwordx4 s[0:3], s[4:5], 0x80
	s_load_dwordx2 s[14:15], s[4:5], 0x90
	s_waitcnt lgkmcnt(0)
	v_mul_lo_u32 v8, v4, s22
	v_mul_lo_u32 v9, v7, s21
	;; [unrolled: 1-line block ×4, first 2 shown]
	v_mul_hi_u32 v11, s42, v4
	s_load_dword s3, s[4:5], 0x5c
	v_add3_u32 v8, v9, v10, v8
	v_mul_hi_u32 v10, s39, v7
	v_add_u32_e32 v11, v4, v11
	v_mul_lo_u32 v1, v4, s26
	v_mul_lo_u32 v6, v3, s24
	v_add_u32_e32 v10, v7, v10
	v_lshrrev_b32_e32 v10, s40, v10
	v_mul_lo_u32 v10, v10, s41
	v_lshrrev_b32_e32 v11, s43, v11
	s_waitcnt lgkmcnt(0)
	v_mul_lo_u32 v11, v11, s3
	v_mov_b32_e32 v2, 0
	v_sub_u32_e32 v7, v7, v10
	v_mul_hi_u32 v10, s36, v3
	v_add3_u32 v1, v5, v6, v1
	v_lshlrev_b64 v[5:6], 2, v[1:2]
	v_sub_u32_e32 v4, v4, v11
	v_add_u32_e32 v10, v3, v10
	v_lshrrev_b32_e32 v10, s37, v10
	v_mul_lo_u32 v10, v10, s38
	v_mov_b32_e32 v9, v2
	v_mul_lo_u32 v12, v7, s1
	v_mul_lo_u32 v4, v4, s2
	v_sub_u32_e32 v3, v3, v10
	v_mul_lo_u32 v3, v3, s0
	v_mov_b32_e32 v1, s7
	v_add_co_u32_e32 v5, vcc, s6, v5
	v_lshlrev_b64 v[8:9], 2, v[8:9]
	v_addc_co_u32_e32 v6, vcc, v1, v6, vcc
	v_mov_b32_e32 v1, s11
	v_add_co_u32_e32 v7, vcc, s10, v8
	v_addc_co_u32_e32 v8, vcc, v1, v9, vcc
	v_add3_u32 v1, v12, v4, v3
	v_lshlrev_b64 v[3:4], 2, v[1:2]
	s_cmp_lg_u64 s[6:7], 0
	v_add_co_u32_e32 v9, vcc, s14, v3
	v_mul_lo_u32 v3, s23, v0
	s_cselect_b64 s[0:1], -1, 0
	v_mov_b32_e32 v1, s15
	v_addc_co_u32_e32 v10, vcc, v1, v4, vcc
	s_mul_i32 s6, s9, s8
	v_cndmask_b32_e64 v1, 0, 1, s[0:1]
	s_mov_b64 s[4:5], 0
	s_mul_i32 s7, s6, s23
	s_sub_i32 s8, 0, s13
	v_cmp_ne_u32_e64 s[0:1], 1, v1
	s_branch .LBB9_4
.LBB9_3:                                ;   in Loop: Header=BB9_4 Depth=1
	v_mul_hi_u32 v1, s18, v0
	v_add_u32_e32 v3, s7, v3
	v_add_u32_e32 v1, v0, v1
	v_lshrrev_b32_e32 v1, s19, v1
	v_mad_u64_u32 v[11:12], s[2:3], s8, v1, v[0:1]
	v_mul_lo_u32 v1, v11, s27
	v_lshlrev_b64 v[11:12], 2, v[1:2]
	v_ashrrev_i32_e32 v1, 31, v0
	v_add_co_u32_e32 v11, vcc, v9, v11
	v_addc_co_u32_e32 v12, vcc, v10, v12, vcc
	global_load_dword v13, v[11:12], off
	v_lshlrev_b64 v[11:12], 2, v[0:1]
	v_add_u32_e32 v0, s6, v0
	v_cmp_le_i32_e32 vcc, s12, v0
	v_add_co_u32_e64 v11, s[2:3], v7, v11
	v_addc_co_u32_e64 v12, s[2:3], v8, v12, s[2:3]
	s_or_b64 s[4:5], vcc, s[4:5]
	s_waitcnt vmcnt(0)
	v_add_f32_e32 v1, v4, v13
	global_store_dword v[11:12], v1, off
	s_andn2_b64 exec, exec, s[4:5]
	s_cbranch_execz .LBB9_6
.LBB9_4:                                ; =>This Inner Loop Header: Depth=1
	s_and_b64 vcc, exec, s[0:1]
	v_mov_b32_e32 v4, 0
	s_cbranch_vccnz .LBB9_3
; %bb.5:                                ;   in Loop: Header=BB9_4 Depth=1
	v_ashrrev_i32_e32 v4, 31, v3
	v_lshlrev_b64 v[11:12], 2, v[3:4]
	v_add_co_u32_e32 v11, vcc, v5, v11
	v_addc_co_u32_e32 v12, vcc, v6, v12, vcc
	global_load_dword v4, v[11:12], off
	s_branch .LBB9_3
.LBB9_6:
	s_endpgm
	.section	.rodata,"a",@progbits
	.p2align	6, 0x0
	.amdhsa_kernel _ZL11k_bin_bcastIXadL_ZL6op_addffEEfffJPKfEEvPKT0_PKT1_PT2_iii15HIP_vector_typeIjLj3EESB_SB_SB_SB_iiiiiiiiiiiDpT3_
		.amdhsa_group_segment_fixed_size 0
		.amdhsa_private_segment_fixed_size 0
		.amdhsa_kernarg_size 408
		.amdhsa_user_sgpr_count 6
		.amdhsa_user_sgpr_private_segment_buffer 1
		.amdhsa_user_sgpr_dispatch_ptr 0
		.amdhsa_user_sgpr_queue_ptr 0
		.amdhsa_user_sgpr_kernarg_segment_ptr 1
		.amdhsa_user_sgpr_dispatch_id 0
		.amdhsa_user_sgpr_flat_scratch_init 0
		.amdhsa_user_sgpr_private_segment_size 0
		.amdhsa_uses_dynamic_stack 0
		.amdhsa_system_sgpr_private_segment_wavefront_offset 0
		.amdhsa_system_sgpr_workgroup_id_x 1
		.amdhsa_system_sgpr_workgroup_id_y 1
		.amdhsa_system_sgpr_workgroup_id_z 1
		.amdhsa_system_sgpr_workgroup_info 0
		.amdhsa_system_vgpr_workitem_id 2
		.amdhsa_next_free_vgpr 14
		.amdhsa_next_free_sgpr 44
		.amdhsa_reserve_vcc 1
		.amdhsa_reserve_flat_scratch 0
		.amdhsa_float_round_mode_32 0
		.amdhsa_float_round_mode_16_64 0
		.amdhsa_float_denorm_mode_32 3
		.amdhsa_float_denorm_mode_16_64 3
		.amdhsa_dx10_clamp 1
		.amdhsa_ieee_mode 1
		.amdhsa_fp16_overflow 0
		.amdhsa_exception_fp_ieee_invalid_op 0
		.amdhsa_exception_fp_denorm_src 0
		.amdhsa_exception_fp_ieee_div_zero 0
		.amdhsa_exception_fp_ieee_overflow 0
		.amdhsa_exception_fp_ieee_underflow 0
		.amdhsa_exception_fp_ieee_inexact 0
		.amdhsa_exception_int_div_zero 0
	.end_amdhsa_kernel
	.section	.text._ZL11k_bin_bcastIXadL_ZL6op_addffEEfffJPKfEEvPKT0_PKT1_PT2_iii15HIP_vector_typeIjLj3EESB_SB_SB_SB_iiiiiiiiiiiDpT3_,"axG",@progbits,_ZL11k_bin_bcastIXadL_ZL6op_addffEEfffJPKfEEvPKT0_PKT1_PT2_iii15HIP_vector_typeIjLj3EESB_SB_SB_SB_iiiiiiiiiiiDpT3_,comdat
.Lfunc_end9:
	.size	_ZL11k_bin_bcastIXadL_ZL6op_addffEEfffJPKfEEvPKT0_PKT1_PT2_iii15HIP_vector_typeIjLj3EESB_SB_SB_SB_iiiiiiiiiiiDpT3_, .Lfunc_end9-_ZL11k_bin_bcastIXadL_ZL6op_addffEEfffJPKfEEvPKT0_PKT1_PT2_iii15HIP_vector_typeIjLj3EESB_SB_SB_SB_iiiiiiiiiiiDpT3_
                                        ; -- End function
	.set _ZL11k_bin_bcastIXadL_ZL6op_addffEEfffJPKfEEvPKT0_PKT1_PT2_iii15HIP_vector_typeIjLj3EESB_SB_SB_SB_iiiiiiiiiiiDpT3_.num_vgpr, 14
	.set _ZL11k_bin_bcastIXadL_ZL6op_addffEEfffJPKfEEvPKT0_PKT1_PT2_iii15HIP_vector_typeIjLj3EESB_SB_SB_SB_iiiiiiiiiiiDpT3_.num_agpr, 0
	.set _ZL11k_bin_bcastIXadL_ZL6op_addffEEfffJPKfEEvPKT0_PKT1_PT2_iii15HIP_vector_typeIjLj3EESB_SB_SB_SB_iiiiiiiiiiiDpT3_.numbered_sgpr, 44
	.set _ZL11k_bin_bcastIXadL_ZL6op_addffEEfffJPKfEEvPKT0_PKT1_PT2_iii15HIP_vector_typeIjLj3EESB_SB_SB_SB_iiiiiiiiiiiDpT3_.num_named_barrier, 0
	.set _ZL11k_bin_bcastIXadL_ZL6op_addffEEfffJPKfEEvPKT0_PKT1_PT2_iii15HIP_vector_typeIjLj3EESB_SB_SB_SB_iiiiiiiiiiiDpT3_.private_seg_size, 0
	.set _ZL11k_bin_bcastIXadL_ZL6op_addffEEfffJPKfEEvPKT0_PKT1_PT2_iii15HIP_vector_typeIjLj3EESB_SB_SB_SB_iiiiiiiiiiiDpT3_.uses_vcc, 1
	.set _ZL11k_bin_bcastIXadL_ZL6op_addffEEfffJPKfEEvPKT0_PKT1_PT2_iii15HIP_vector_typeIjLj3EESB_SB_SB_SB_iiiiiiiiiiiDpT3_.uses_flat_scratch, 0
	.set _ZL11k_bin_bcastIXadL_ZL6op_addffEEfffJPKfEEvPKT0_PKT1_PT2_iii15HIP_vector_typeIjLj3EESB_SB_SB_SB_iiiiiiiiiiiDpT3_.has_dyn_sized_stack, 0
	.set _ZL11k_bin_bcastIXadL_ZL6op_addffEEfffJPKfEEvPKT0_PKT1_PT2_iii15HIP_vector_typeIjLj3EESB_SB_SB_SB_iiiiiiiiiiiDpT3_.has_recursion, 0
	.set _ZL11k_bin_bcastIXadL_ZL6op_addffEEfffJPKfEEvPKT0_PKT1_PT2_iii15HIP_vector_typeIjLj3EESB_SB_SB_SB_iiiiiiiiiiiDpT3_.has_indirect_call, 0
	.section	.AMDGPU.csdata,"",@progbits
; Kernel info:
; codeLenInByte = 712
; TotalNumSgprs: 48
; NumVgprs: 14
; ScratchSize: 0
; MemoryBound: 0
; FloatMode: 240
; IeeeMode: 1
; LDSByteSize: 0 bytes/workgroup (compile time only)
; SGPRBlocks: 5
; VGPRBlocks: 3
; NumSGPRsForWavesPerEU: 48
; NumVGPRsForWavesPerEU: 14
; Occupancy: 10
; WaveLimiterHint : 1
; COMPUTE_PGM_RSRC2:SCRATCH_EN: 0
; COMPUTE_PGM_RSRC2:USER_SGPR: 6
; COMPUTE_PGM_RSRC2:TRAP_HANDLER: 0
; COMPUTE_PGM_RSRC2:TGID_X_EN: 1
; COMPUTE_PGM_RSRC2:TGID_Y_EN: 1
; COMPUTE_PGM_RSRC2:TGID_Z_EN: 1
; COMPUTE_PGM_RSRC2:TIDIG_COMP_CNT: 2
	.section	.text._ZL19k_bin_bcast_unravelIXadL_ZL6op_addffEE6__halfS0_S0_JPKS0_EEvPKT0_PKT1_PT2_15HIP_vector_typeIjLj3EESC_SC_jSC_SC_SC_SC_SC_SC_iiiiiiiiiiiDpT3_,"axG",@progbits,_ZL19k_bin_bcast_unravelIXadL_ZL6op_addffEE6__halfS0_S0_JPKS0_EEvPKT0_PKT1_PT2_15HIP_vector_typeIjLj3EESC_SC_jSC_SC_SC_SC_SC_SC_iiiiiiiiiiiDpT3_,comdat
	.globl	_ZL19k_bin_bcast_unravelIXadL_ZL6op_addffEE6__halfS0_S0_JPKS0_EEvPKT0_PKT1_PT2_15HIP_vector_typeIjLj3EESC_SC_jSC_SC_SC_SC_SC_SC_iiiiiiiiiiiDpT3_ ; -- Begin function _ZL19k_bin_bcast_unravelIXadL_ZL6op_addffEE6__halfS0_S0_JPKS0_EEvPKT0_PKT1_PT2_15HIP_vector_typeIjLj3EESC_SC_jSC_SC_SC_SC_SC_SC_iiiiiiiiiiiDpT3_
	.p2align	8
	.type	_ZL19k_bin_bcast_unravelIXadL_ZL6op_addffEE6__halfS0_S0_JPKS0_EEvPKT0_PKT1_PT2_15HIP_vector_typeIjLj3EESC_SC_jSC_SC_SC_SC_SC_SC_iiiiiiiiiiiDpT3_,@function
_ZL19k_bin_bcast_unravelIXadL_ZL6op_addffEE6__halfS0_S0_JPKS0_EEvPKT0_PKT1_PT2_15HIP_vector_typeIjLj3EESC_SC_jSC_SC_SC_SC_SC_SC_iiiiiiiiiiiDpT3_: ; @_ZL19k_bin_bcast_unravelIXadL_ZL6op_addffEE6__halfS0_S0_JPKS0_EEvPKT0_PKT1_PT2_15HIP_vector_typeIjLj3EESC_SC_jSC_SC_SC_SC_SC_SC_iiiiiiiiiiiDpT3_
; %bb.0:
	s_load_dword s0, s[4:5], 0xcc
	s_load_dwordx8 s[8:15], s[4:5], 0x38
	s_waitcnt lgkmcnt(0)
	s_and_b32 s0, s0, 0xffff
	s_mul_i32 s6, s6, s0
	v_add_u32_e32 v0, s6, v0
	v_mul_hi_u32 v1, v0, s10
	s_load_dwordx4 s[0:3], s[4:5], 0x18
	s_waitcnt lgkmcnt(0)
	s_load_dword s3, s[4:5], 0x2c
	v_add_u32_e32 v1, v0, v1
	v_lshrrev_b32_e32 v1, s11, v1
	v_mul_lo_u32 v2, v1, s12
	v_sub_u32_e32 v0, v0, v2
	v_mul_hi_u32 v2, v0, s13
	v_add_u32_e32 v2, v0, v2
	v_lshrrev_b32_e32 v3, s14, v2
	v_mul_lo_u32 v2, v3, s15
	v_cmp_gt_u32_e32 vcc, s8, v3
	v_sub_u32_e32 v0, v0, v2
	v_mul_hi_u32 v2, v0, s0
	v_add_u32_e32 v2, v0, v2
	v_lshrrev_b32_e32 v4, s1, v2
	v_mul_lo_u32 v2, v4, s2
	s_waitcnt lgkmcnt(0)
	v_cmp_gt_u32_e64 s[0:1], s3, v4
	v_sub_u32_e32 v0, v0, v2
	v_cmp_gt_u32_e64 s[2:3], s2, v0
	s_and_b64 s[0:1], s[2:3], s[0:1]
	s_and_b64 s[0:1], s[0:1], vcc
	v_cmp_gt_u32_e32 vcc, s9, v1
	s_and_b64 s[0:1], vcc, s[0:1]
	s_and_saveexec_b64 s[2:3], s[0:1]
	s_cbranch_execz .LBB10_4
; %bb.1:
	s_load_dwordx2 s[6:7], s[4:5], 0x0
	s_load_dwordx4 s[0:3], s[4:5], 0xa8
	s_load_dwordx8 s[8:15], s[4:5], 0x88
	s_load_dwordx4 s[24:27], s[4:5], 0x78
	s_load_dwordx8 s[16:23], s[4:5], 0x58
	v_mov_b32_e32 v2, 0
	s_waitcnt lgkmcnt(0)
	s_cmp_eq_u64 s[6:7], 0
	v_mov_b32_e32 v5, 0
	s_cbranch_scc1 .LBB10_3
; %bb.2:
	v_mul_lo_u32 v5, v1, s14
	v_mul_lo_u32 v7, v3, s13
	;; [unrolled: 1-line block ×3, first 2 shown]
	v_mov_b32_e32 v6, 0
	v_mov_b32_e32 v9, s7
	v_add3_u32 v5, v7, v5, v8
	v_lshlrev_b64 v[7:8], 1, v[5:6]
	v_mul_lo_u32 v5, v0, s11
	v_add_co_u32_e32 v7, vcc, s6, v7
	v_addc_co_u32_e32 v8, vcc, v9, v8, vcc
	v_lshlrev_b64 v[5:6], 1, v[5:6]
	v_add_co_u32_e32 v5, vcc, v7, v5
	v_addc_co_u32_e32 v6, vcc, v8, v6, vcc
	global_load_ushort v5, v[5:6], off
	s_waitcnt vmcnt(0)
	v_cvt_f32_f16_e32 v5, v5
.LBB10_3:
	v_mul_hi_u32 v6, s19, v4
	v_mul_hi_u32 v7, s22, v3
	;; [unrolled: 1-line block ×4, first 2 shown]
	v_add_u32_e32 v6, v4, v6
	v_add_u32_e32 v7, v3, v7
	;; [unrolled: 1-line block ×3, first 2 shown]
	v_lshrrev_b32_e32 v6, s20, v6
	v_lshrrev_b32_e32 v7, s23, v7
	;; [unrolled: 1-line block ×3, first 2 shown]
	v_mul_lo_u32 v6, v6, s21
	v_mul_lo_u32 v7, v7, s24
	;; [unrolled: 1-line block ×3, first 2 shown]
	v_add_u32_e32 v9, v0, v9
	v_lshrrev_b32_e32 v9, s17, v9
	v_mul_lo_u32 v9, v9, s18
	v_sub_u32_e32 v6, v4, v6
	v_sub_u32_e32 v7, v3, v7
	;; [unrolled: 1-line block ×3, first 2 shown]
	v_mul_lo_u32 v8, v8, s2
	v_mul_lo_u32 v7, v7, s1
	;; [unrolled: 1-line block ×3, first 2 shown]
	v_sub_u32_e32 v6, v0, v9
	v_mul_lo_u32 v6, v6, s15
	s_load_dwordx2 s[0:1], s[4:5], 0xb8
	v_add3_u32 v8, v7, v8, v10
	v_ashrrev_i32_e32 v9, 31, v8
	v_lshlrev_b64 v[8:9], 1, v[8:9]
	v_ashrrev_i32_e32 v7, 31, v6
	s_waitcnt lgkmcnt(0)
	v_mov_b32_e32 v10, s1
	v_add_co_u32_e32 v8, vcc, s0, v8
	v_lshlrev_b64 v[6:7], 1, v[6:7]
	v_addc_co_u32_e32 v9, vcc, v10, v9, vcc
	v_add_co_u32_e32 v6, vcc, v8, v6
	v_addc_co_u32_e32 v7, vcc, v9, v7, vcc
	global_load_ushort v6, v[6:7], off
	v_mul_lo_u32 v7, v1, s10
	v_mul_lo_u32 v8, v3, s9
	;; [unrolled: 1-line block ×3, first 2 shown]
	s_load_dwordx2 s[0:1], s[4:5], 0x10
	v_mov_b32_e32 v1, v2
	v_lshlrev_b64 v[3:4], 1, v[0:1]
	v_add3_u32 v1, v8, v7, v9
	v_lshlrev_b64 v[0:1], 1, v[1:2]
	s_waitcnt lgkmcnt(0)
	v_mov_b32_e32 v2, s1
	v_add_co_u32_e32 v0, vcc, s0, v0
	v_addc_co_u32_e32 v1, vcc, v2, v1, vcc
	v_add_co_u32_e32 v0, vcc, v0, v3
	v_addc_co_u32_e32 v1, vcc, v1, v4, vcc
	s_waitcnt vmcnt(0)
	v_cvt_f32_f16_e32 v6, v6
	v_add_f32_e32 v2, v5, v6
	v_cvt_f16_f32_e32 v2, v2
	global_store_short v[0:1], v2, off
.LBB10_4:
	s_endpgm
	.section	.rodata,"a",@progbits
	.p2align	6, 0x0
	.amdhsa_kernel _ZL19k_bin_bcast_unravelIXadL_ZL6op_addffEE6__halfS0_S0_JPKS0_EEvPKT0_PKT1_PT2_15HIP_vector_typeIjLj3EESC_SC_jSC_SC_SC_SC_SC_SC_iiiiiiiiiiiDpT3_
		.amdhsa_group_segment_fixed_size 0
		.amdhsa_private_segment_fixed_size 0
		.amdhsa_kernarg_size 448
		.amdhsa_user_sgpr_count 6
		.amdhsa_user_sgpr_private_segment_buffer 1
		.amdhsa_user_sgpr_dispatch_ptr 0
		.amdhsa_user_sgpr_queue_ptr 0
		.amdhsa_user_sgpr_kernarg_segment_ptr 1
		.amdhsa_user_sgpr_dispatch_id 0
		.amdhsa_user_sgpr_flat_scratch_init 0
		.amdhsa_user_sgpr_private_segment_size 0
		.amdhsa_uses_dynamic_stack 0
		.amdhsa_system_sgpr_private_segment_wavefront_offset 0
		.amdhsa_system_sgpr_workgroup_id_x 1
		.amdhsa_system_sgpr_workgroup_id_y 0
		.amdhsa_system_sgpr_workgroup_id_z 0
		.amdhsa_system_sgpr_workgroup_info 0
		.amdhsa_system_vgpr_workitem_id 0
		.amdhsa_next_free_vgpr 11
		.amdhsa_next_free_sgpr 28
		.amdhsa_reserve_vcc 1
		.amdhsa_reserve_flat_scratch 0
		.amdhsa_float_round_mode_32 0
		.amdhsa_float_round_mode_16_64 0
		.amdhsa_float_denorm_mode_32 3
		.amdhsa_float_denorm_mode_16_64 3
		.amdhsa_dx10_clamp 1
		.amdhsa_ieee_mode 1
		.amdhsa_fp16_overflow 0
		.amdhsa_exception_fp_ieee_invalid_op 0
		.amdhsa_exception_fp_denorm_src 0
		.amdhsa_exception_fp_ieee_div_zero 0
		.amdhsa_exception_fp_ieee_overflow 0
		.amdhsa_exception_fp_ieee_underflow 0
		.amdhsa_exception_fp_ieee_inexact 0
		.amdhsa_exception_int_div_zero 0
	.end_amdhsa_kernel
	.section	.text._ZL19k_bin_bcast_unravelIXadL_ZL6op_addffEE6__halfS0_S0_JPKS0_EEvPKT0_PKT1_PT2_15HIP_vector_typeIjLj3EESC_SC_jSC_SC_SC_SC_SC_SC_iiiiiiiiiiiDpT3_,"axG",@progbits,_ZL19k_bin_bcast_unravelIXadL_ZL6op_addffEE6__halfS0_S0_JPKS0_EEvPKT0_PKT1_PT2_15HIP_vector_typeIjLj3EESC_SC_jSC_SC_SC_SC_SC_SC_iiiiiiiiiiiDpT3_,comdat
.Lfunc_end10:
	.size	_ZL19k_bin_bcast_unravelIXadL_ZL6op_addffEE6__halfS0_S0_JPKS0_EEvPKT0_PKT1_PT2_15HIP_vector_typeIjLj3EESC_SC_jSC_SC_SC_SC_SC_SC_iiiiiiiiiiiDpT3_, .Lfunc_end10-_ZL19k_bin_bcast_unravelIXadL_ZL6op_addffEE6__halfS0_S0_JPKS0_EEvPKT0_PKT1_PT2_15HIP_vector_typeIjLj3EESC_SC_jSC_SC_SC_SC_SC_SC_iiiiiiiiiiiDpT3_
                                        ; -- End function
	.set _ZL19k_bin_bcast_unravelIXadL_ZL6op_addffEE6__halfS0_S0_JPKS0_EEvPKT0_PKT1_PT2_15HIP_vector_typeIjLj3EESC_SC_jSC_SC_SC_SC_SC_SC_iiiiiiiiiiiDpT3_.num_vgpr, 11
	.set _ZL19k_bin_bcast_unravelIXadL_ZL6op_addffEE6__halfS0_S0_JPKS0_EEvPKT0_PKT1_PT2_15HIP_vector_typeIjLj3EESC_SC_jSC_SC_SC_SC_SC_SC_iiiiiiiiiiiDpT3_.num_agpr, 0
	.set _ZL19k_bin_bcast_unravelIXadL_ZL6op_addffEE6__halfS0_S0_JPKS0_EEvPKT0_PKT1_PT2_15HIP_vector_typeIjLj3EESC_SC_jSC_SC_SC_SC_SC_SC_iiiiiiiiiiiDpT3_.numbered_sgpr, 28
	.set _ZL19k_bin_bcast_unravelIXadL_ZL6op_addffEE6__halfS0_S0_JPKS0_EEvPKT0_PKT1_PT2_15HIP_vector_typeIjLj3EESC_SC_jSC_SC_SC_SC_SC_SC_iiiiiiiiiiiDpT3_.num_named_barrier, 0
	.set _ZL19k_bin_bcast_unravelIXadL_ZL6op_addffEE6__halfS0_S0_JPKS0_EEvPKT0_PKT1_PT2_15HIP_vector_typeIjLj3EESC_SC_jSC_SC_SC_SC_SC_SC_iiiiiiiiiiiDpT3_.private_seg_size, 0
	.set _ZL19k_bin_bcast_unravelIXadL_ZL6op_addffEE6__halfS0_S0_JPKS0_EEvPKT0_PKT1_PT2_15HIP_vector_typeIjLj3EESC_SC_jSC_SC_SC_SC_SC_SC_iiiiiiiiiiiDpT3_.uses_vcc, 1
	.set _ZL19k_bin_bcast_unravelIXadL_ZL6op_addffEE6__halfS0_S0_JPKS0_EEvPKT0_PKT1_PT2_15HIP_vector_typeIjLj3EESC_SC_jSC_SC_SC_SC_SC_SC_iiiiiiiiiiiDpT3_.uses_flat_scratch, 0
	.set _ZL19k_bin_bcast_unravelIXadL_ZL6op_addffEE6__halfS0_S0_JPKS0_EEvPKT0_PKT1_PT2_15HIP_vector_typeIjLj3EESC_SC_jSC_SC_SC_SC_SC_SC_iiiiiiiiiiiDpT3_.has_dyn_sized_stack, 0
	.set _ZL19k_bin_bcast_unravelIXadL_ZL6op_addffEE6__halfS0_S0_JPKS0_EEvPKT0_PKT1_PT2_15HIP_vector_typeIjLj3EESC_SC_jSC_SC_SC_SC_SC_SC_iiiiiiiiiiiDpT3_.has_recursion, 0
	.set _ZL19k_bin_bcast_unravelIXadL_ZL6op_addffEE6__halfS0_S0_JPKS0_EEvPKT0_PKT1_PT2_15HIP_vector_typeIjLj3EESC_SC_jSC_SC_SC_SC_SC_SC_iiiiiiiiiiiDpT3_.has_indirect_call, 0
	.section	.AMDGPU.csdata,"",@progbits
; Kernel info:
; codeLenInByte = 672
; TotalNumSgprs: 32
; NumVgprs: 11
; ScratchSize: 0
; MemoryBound: 0
; FloatMode: 240
; IeeeMode: 1
; LDSByteSize: 0 bytes/workgroup (compile time only)
; SGPRBlocks: 3
; VGPRBlocks: 2
; NumSGPRsForWavesPerEU: 32
; NumVGPRsForWavesPerEU: 11
; Occupancy: 10
; WaveLimiterHint : 1
; COMPUTE_PGM_RSRC2:SCRATCH_EN: 0
; COMPUTE_PGM_RSRC2:USER_SGPR: 6
; COMPUTE_PGM_RSRC2:TRAP_HANDLER: 0
; COMPUTE_PGM_RSRC2:TGID_X_EN: 1
; COMPUTE_PGM_RSRC2:TGID_Y_EN: 0
; COMPUTE_PGM_RSRC2:TGID_Z_EN: 0
; COMPUTE_PGM_RSRC2:TIDIG_COMP_CNT: 0
	.section	.text._ZL11k_bin_bcastIXadL_ZL6op_addffEE6__halfS0_S0_JPKS0_EEvPKT0_PKT1_PT2_iii15HIP_vector_typeIjLj3EESC_SC_SC_SC_iiiiiiiiiiiDpT3_,"axG",@progbits,_ZL11k_bin_bcastIXadL_ZL6op_addffEE6__halfS0_S0_JPKS0_EEvPKT0_PKT1_PT2_iii15HIP_vector_typeIjLj3EESC_SC_SC_SC_iiiiiiiiiiiDpT3_,comdat
	.globl	_ZL11k_bin_bcastIXadL_ZL6op_addffEE6__halfS0_S0_JPKS0_EEvPKT0_PKT1_PT2_iii15HIP_vector_typeIjLj3EESC_SC_SC_SC_iiiiiiiiiiiDpT3_ ; -- Begin function _ZL11k_bin_bcastIXadL_ZL6op_addffEE6__halfS0_S0_JPKS0_EEvPKT0_PKT1_PT2_iii15HIP_vector_typeIjLj3EESC_SC_SC_SC_iiiiiiiiiiiDpT3_
	.p2align	8
	.type	_ZL11k_bin_bcastIXadL_ZL6op_addffEE6__halfS0_S0_JPKS0_EEvPKT0_PKT1_PT2_iii15HIP_vector_typeIjLj3EESC_SC_SC_SC_iiiiiiiiiiiDpT3_,@function
_ZL11k_bin_bcastIXadL_ZL6op_addffEE6__halfS0_S0_JPKS0_EEvPKT0_PKT1_PT2_iii15HIP_vector_typeIjLj3EESC_SC_SC_SC_iiiiiiiiiiiDpT3_: ; @_ZL11k_bin_bcastIXadL_ZL6op_addffEE6__halfS0_S0_JPKS0_EEvPKT0_PKT1_PT2_iii15HIP_vector_typeIjLj3EESC_SC_SC_SC_iiiiiiiiiiiDpT3_
; %bb.0:
	s_load_dwordx2 s[0:1], s[4:5], 0xa4
	s_load_dwordx8 s[12:19], s[4:5], 0x18
	s_add_u32 s2, s4, 0x98
	s_addc_u32 s3, s5, 0
	s_waitcnt lgkmcnt(0)
	s_and_b32 s1, s1, 0xffff
	s_mul_i32 s8, s8, s1
	v_add_u32_e32 v2, s8, v2
	v_mul_hi_u32 v3, v2, s15
	s_lshr_b32 s1, s0, 16
	s_and_b32 s8, s0, 0xffff
	s_mul_i32 s6, s6, s8
	v_add_u32_e32 v3, v2, v3
	v_lshrrev_b32_e32 v7, s16, v3
	v_mul_lo_u32 v4, v7, s17
	s_mul_i32 s7, s7, s1
	v_add_u32_e32 v0, s6, v0
	v_add_u32_e32 v3, s7, v1
	v_cmp_gt_u32_e32 vcc, s12, v0
	v_cmp_gt_u32_e64 s[0:1], s13, v3
	v_sub_u32_e32 v4, v2, v4
	s_and_b64 s[0:1], vcc, s[0:1]
	v_cmp_gt_u32_e32 vcc, s14, v7
	s_and_b64 s[0:1], s[0:1], vcc
	v_cmp_gt_u32_e32 vcc, s17, v4
	s_and_b64 s[0:1], s[0:1], vcc
	s_and_saveexec_b64 s[6:7], s[0:1]
	s_cbranch_execz .LBB11_6
; %bb.1:
	v_cmp_gt_i32_e32 vcc, s12, v0
	s_and_b64 exec, exec, vcc
	s_cbranch_execz .LBB11_6
; %bb.2:
	s_load_dwordx8 s[20:27], s[4:5], 0x60
	s_load_dword s9, s[2:3], 0x0
	s_load_dwordx2 s[6:7], s[4:5], 0x0
	s_load_dwordx8 s[36:43], s[4:5], 0x3c
	s_load_dword s13, s[4:5], 0x38
	s_load_dwordx2 s[10:11], s[4:5], 0x10
	s_nop 0
	s_load_dwordx4 s[0:3], s[4:5], 0x80
	s_load_dwordx2 s[14:15], s[4:5], 0x90
	s_waitcnt lgkmcnt(0)
	v_mul_lo_u32 v8, v4, s22
	v_mul_lo_u32 v9, v7, s21
	;; [unrolled: 1-line block ×4, first 2 shown]
	v_mul_hi_u32 v11, s42, v4
	s_load_dword s3, s[4:5], 0x5c
	v_add3_u32 v8, v9, v10, v8
	v_mul_hi_u32 v10, s39, v7
	v_add_u32_e32 v11, v4, v11
	v_mul_lo_u32 v1, v4, s26
	v_mul_lo_u32 v6, v3, s24
	v_add_u32_e32 v10, v7, v10
	v_lshrrev_b32_e32 v10, s40, v10
	v_mul_lo_u32 v10, v10, s41
	v_lshrrev_b32_e32 v11, s43, v11
	s_waitcnt lgkmcnt(0)
	v_mul_lo_u32 v11, v11, s3
	v_mov_b32_e32 v2, 0
	v_sub_u32_e32 v7, v7, v10
	v_mul_hi_u32 v10, s36, v3
	v_add3_u32 v1, v5, v6, v1
	v_lshlrev_b64 v[5:6], 1, v[1:2]
	v_sub_u32_e32 v4, v4, v11
	v_add_u32_e32 v10, v3, v10
	v_lshrrev_b32_e32 v10, s37, v10
	v_mul_lo_u32 v10, v10, s38
	v_mov_b32_e32 v9, v2
	v_mul_lo_u32 v12, v7, s1
	v_mul_lo_u32 v4, v4, s2
	v_sub_u32_e32 v3, v3, v10
	v_mul_lo_u32 v3, v3, s0
	v_mov_b32_e32 v1, s7
	v_add_co_u32_e32 v5, vcc, s6, v5
	v_lshlrev_b64 v[8:9], 1, v[8:9]
	v_addc_co_u32_e32 v6, vcc, v1, v6, vcc
	v_mov_b32_e32 v1, s11
	v_add_co_u32_e32 v7, vcc, s10, v8
	v_addc_co_u32_e32 v8, vcc, v1, v9, vcc
	v_add3_u32 v1, v12, v4, v3
	v_lshlrev_b64 v[3:4], 1, v[1:2]
	s_cmp_lg_u64 s[6:7], 0
	v_add_co_u32_e32 v9, vcc, s14, v3
	v_mul_lo_u32 v3, s23, v0
	s_cselect_b64 s[0:1], -1, 0
	v_mov_b32_e32 v1, s15
	v_addc_co_u32_e32 v10, vcc, v1, v4, vcc
	s_mul_i32 s6, s9, s8
	v_cndmask_b32_e64 v1, 0, 1, s[0:1]
	s_mov_b64 s[4:5], 0
	s_mul_i32 s7, s6, s23
	s_sub_i32 s8, 0, s13
	v_cmp_ne_u32_e64 s[0:1], 1, v1
	s_branch .LBB11_4
.LBB11_3:                               ;   in Loop: Header=BB11_4 Depth=1
	v_mul_hi_u32 v1, s18, v0
	v_add_u32_e32 v3, s7, v3
	v_add_u32_e32 v1, v0, v1
	v_lshrrev_b32_e32 v1, s19, v1
	v_mad_u64_u32 v[11:12], s[2:3], s8, v1, v[0:1]
	v_mul_lo_u32 v1, v11, s27
	v_lshlrev_b64 v[11:12], 1, v[1:2]
	v_ashrrev_i32_e32 v1, 31, v0
	v_add_co_u32_e32 v11, vcc, v9, v11
	v_addc_co_u32_e32 v12, vcc, v10, v12, vcc
	global_load_ushort v11, v[11:12], off
	s_waitcnt vmcnt(0)
	v_cvt_f32_f16_e32 v13, v11
	v_lshlrev_b64 v[11:12], 1, v[0:1]
	v_add_u32_e32 v0, s6, v0
	v_cmp_le_i32_e32 vcc, s12, v0
	v_add_f32_e32 v1, v4, v13
	v_cvt_f16_f32_e32 v1, v1
	v_add_co_u32_e64 v11, s[2:3], v7, v11
	v_addc_co_u32_e64 v12, s[2:3], v8, v12, s[2:3]
	s_or_b64 s[4:5], vcc, s[4:5]
	global_store_short v[11:12], v1, off
	s_andn2_b64 exec, exec, s[4:5]
	s_cbranch_execz .LBB11_6
.LBB11_4:                               ; =>This Inner Loop Header: Depth=1
	s_and_b64 vcc, exec, s[0:1]
	v_mov_b32_e32 v4, 0
	s_cbranch_vccnz .LBB11_3
; %bb.5:                                ;   in Loop: Header=BB11_4 Depth=1
	v_ashrrev_i32_e32 v4, 31, v3
	v_lshlrev_b64 v[11:12], 1, v[3:4]
	v_add_co_u32_e32 v11, vcc, v5, v11
	v_addc_co_u32_e32 v12, vcc, v6, v12, vcc
	global_load_ushort v1, v[11:12], off
	s_waitcnt vmcnt(0)
	v_cvt_f32_f16_e32 v4, v1
	s_branch .LBB11_3
.LBB11_6:
	s_endpgm
	.section	.rodata,"a",@progbits
	.p2align	6, 0x0
	.amdhsa_kernel _ZL11k_bin_bcastIXadL_ZL6op_addffEE6__halfS0_S0_JPKS0_EEvPKT0_PKT1_PT2_iii15HIP_vector_typeIjLj3EESC_SC_SC_SC_iiiiiiiiiiiDpT3_
		.amdhsa_group_segment_fixed_size 0
		.amdhsa_private_segment_fixed_size 0
		.amdhsa_kernarg_size 408
		.amdhsa_user_sgpr_count 6
		.amdhsa_user_sgpr_private_segment_buffer 1
		.amdhsa_user_sgpr_dispatch_ptr 0
		.amdhsa_user_sgpr_queue_ptr 0
		.amdhsa_user_sgpr_kernarg_segment_ptr 1
		.amdhsa_user_sgpr_dispatch_id 0
		.amdhsa_user_sgpr_flat_scratch_init 0
		.amdhsa_user_sgpr_private_segment_size 0
		.amdhsa_uses_dynamic_stack 0
		.amdhsa_system_sgpr_private_segment_wavefront_offset 0
		.amdhsa_system_sgpr_workgroup_id_x 1
		.amdhsa_system_sgpr_workgroup_id_y 1
		.amdhsa_system_sgpr_workgroup_id_z 1
		.amdhsa_system_sgpr_workgroup_info 0
		.amdhsa_system_vgpr_workitem_id 2
		.amdhsa_next_free_vgpr 14
		.amdhsa_next_free_sgpr 44
		.amdhsa_reserve_vcc 1
		.amdhsa_reserve_flat_scratch 0
		.amdhsa_float_round_mode_32 0
		.amdhsa_float_round_mode_16_64 0
		.amdhsa_float_denorm_mode_32 3
		.amdhsa_float_denorm_mode_16_64 3
		.amdhsa_dx10_clamp 1
		.amdhsa_ieee_mode 1
		.amdhsa_fp16_overflow 0
		.amdhsa_exception_fp_ieee_invalid_op 0
		.amdhsa_exception_fp_denorm_src 0
		.amdhsa_exception_fp_ieee_div_zero 0
		.amdhsa_exception_fp_ieee_overflow 0
		.amdhsa_exception_fp_ieee_underflow 0
		.amdhsa_exception_fp_ieee_inexact 0
		.amdhsa_exception_int_div_zero 0
	.end_amdhsa_kernel
	.section	.text._ZL11k_bin_bcastIXadL_ZL6op_addffEE6__halfS0_S0_JPKS0_EEvPKT0_PKT1_PT2_iii15HIP_vector_typeIjLj3EESC_SC_SC_SC_iiiiiiiiiiiDpT3_,"axG",@progbits,_ZL11k_bin_bcastIXadL_ZL6op_addffEE6__halfS0_S0_JPKS0_EEvPKT0_PKT1_PT2_iii15HIP_vector_typeIjLj3EESC_SC_SC_SC_iiiiiiiiiiiDpT3_,comdat
.Lfunc_end11:
	.size	_ZL11k_bin_bcastIXadL_ZL6op_addffEE6__halfS0_S0_JPKS0_EEvPKT0_PKT1_PT2_iii15HIP_vector_typeIjLj3EESC_SC_SC_SC_iiiiiiiiiiiDpT3_, .Lfunc_end11-_ZL11k_bin_bcastIXadL_ZL6op_addffEE6__halfS0_S0_JPKS0_EEvPKT0_PKT1_PT2_iii15HIP_vector_typeIjLj3EESC_SC_SC_SC_iiiiiiiiiiiDpT3_
                                        ; -- End function
	.set _ZL11k_bin_bcastIXadL_ZL6op_addffEE6__halfS0_S0_JPKS0_EEvPKT0_PKT1_PT2_iii15HIP_vector_typeIjLj3EESC_SC_SC_SC_iiiiiiiiiiiDpT3_.num_vgpr, 14
	.set _ZL11k_bin_bcastIXadL_ZL6op_addffEE6__halfS0_S0_JPKS0_EEvPKT0_PKT1_PT2_iii15HIP_vector_typeIjLj3EESC_SC_SC_SC_iiiiiiiiiiiDpT3_.num_agpr, 0
	.set _ZL11k_bin_bcastIXadL_ZL6op_addffEE6__halfS0_S0_JPKS0_EEvPKT0_PKT1_PT2_iii15HIP_vector_typeIjLj3EESC_SC_SC_SC_iiiiiiiiiiiDpT3_.numbered_sgpr, 44
	.set _ZL11k_bin_bcastIXadL_ZL6op_addffEE6__halfS0_S0_JPKS0_EEvPKT0_PKT1_PT2_iii15HIP_vector_typeIjLj3EESC_SC_SC_SC_iiiiiiiiiiiDpT3_.num_named_barrier, 0
	.set _ZL11k_bin_bcastIXadL_ZL6op_addffEE6__halfS0_S0_JPKS0_EEvPKT0_PKT1_PT2_iii15HIP_vector_typeIjLj3EESC_SC_SC_SC_iiiiiiiiiiiDpT3_.private_seg_size, 0
	.set _ZL11k_bin_bcastIXadL_ZL6op_addffEE6__halfS0_S0_JPKS0_EEvPKT0_PKT1_PT2_iii15HIP_vector_typeIjLj3EESC_SC_SC_SC_iiiiiiiiiiiDpT3_.uses_vcc, 1
	.set _ZL11k_bin_bcastIXadL_ZL6op_addffEE6__halfS0_S0_JPKS0_EEvPKT0_PKT1_PT2_iii15HIP_vector_typeIjLj3EESC_SC_SC_SC_iiiiiiiiiiiDpT3_.uses_flat_scratch, 0
	.set _ZL11k_bin_bcastIXadL_ZL6op_addffEE6__halfS0_S0_JPKS0_EEvPKT0_PKT1_PT2_iii15HIP_vector_typeIjLj3EESC_SC_SC_SC_iiiiiiiiiiiDpT3_.has_dyn_sized_stack, 0
	.set _ZL11k_bin_bcastIXadL_ZL6op_addffEE6__halfS0_S0_JPKS0_EEvPKT0_PKT1_PT2_iii15HIP_vector_typeIjLj3EESC_SC_SC_SC_iiiiiiiiiiiDpT3_.has_recursion, 0
	.set _ZL11k_bin_bcastIXadL_ZL6op_addffEE6__halfS0_S0_JPKS0_EEvPKT0_PKT1_PT2_iii15HIP_vector_typeIjLj3EESC_SC_SC_SC_iiiiiiiiiiiDpT3_.has_indirect_call, 0
	.section	.AMDGPU.csdata,"",@progbits
; Kernel info:
; codeLenInByte = 728
; TotalNumSgprs: 48
; NumVgprs: 14
; ScratchSize: 0
; MemoryBound: 0
; FloatMode: 240
; IeeeMode: 1
; LDSByteSize: 0 bytes/workgroup (compile time only)
; SGPRBlocks: 5
; VGPRBlocks: 3
; NumSGPRsForWavesPerEU: 48
; NumVGPRsForWavesPerEU: 14
; Occupancy: 10
; WaveLimiterHint : 1
; COMPUTE_PGM_RSRC2:SCRATCH_EN: 0
; COMPUTE_PGM_RSRC2:USER_SGPR: 6
; COMPUTE_PGM_RSRC2:TRAP_HANDLER: 0
; COMPUTE_PGM_RSRC2:TGID_X_EN: 1
; COMPUTE_PGM_RSRC2:TGID_Y_EN: 1
; COMPUTE_PGM_RSRC2:TGID_Z_EN: 1
; COMPUTE_PGM_RSRC2:TIDIG_COMP_CNT: 2
	.section	.text._ZL19k_bin_bcast_unravelIXadL_ZL6op_addffEE6__halffS0_JPKfEEvPKT0_PKT1_PT2_15HIP_vector_typeIjLj3EESC_SC_jSC_SC_SC_SC_SC_SC_iiiiiiiiiiiDpT3_,"axG",@progbits,_ZL19k_bin_bcast_unravelIXadL_ZL6op_addffEE6__halffS0_JPKfEEvPKT0_PKT1_PT2_15HIP_vector_typeIjLj3EESC_SC_jSC_SC_SC_SC_SC_SC_iiiiiiiiiiiDpT3_,comdat
	.globl	_ZL19k_bin_bcast_unravelIXadL_ZL6op_addffEE6__halffS0_JPKfEEvPKT0_PKT1_PT2_15HIP_vector_typeIjLj3EESC_SC_jSC_SC_SC_SC_SC_SC_iiiiiiiiiiiDpT3_ ; -- Begin function _ZL19k_bin_bcast_unravelIXadL_ZL6op_addffEE6__halffS0_JPKfEEvPKT0_PKT1_PT2_15HIP_vector_typeIjLj3EESC_SC_jSC_SC_SC_SC_SC_SC_iiiiiiiiiiiDpT3_
	.p2align	8
	.type	_ZL19k_bin_bcast_unravelIXadL_ZL6op_addffEE6__halffS0_JPKfEEvPKT0_PKT1_PT2_15HIP_vector_typeIjLj3EESC_SC_jSC_SC_SC_SC_SC_SC_iiiiiiiiiiiDpT3_,@function
_ZL19k_bin_bcast_unravelIXadL_ZL6op_addffEE6__halffS0_JPKfEEvPKT0_PKT1_PT2_15HIP_vector_typeIjLj3EESC_SC_jSC_SC_SC_SC_SC_SC_iiiiiiiiiiiDpT3_: ; @_ZL19k_bin_bcast_unravelIXadL_ZL6op_addffEE6__halffS0_JPKfEEvPKT0_PKT1_PT2_15HIP_vector_typeIjLj3EESC_SC_jSC_SC_SC_SC_SC_SC_iiiiiiiiiiiDpT3_
; %bb.0:
	s_load_dword s0, s[4:5], 0xcc
	s_load_dwordx8 s[8:15], s[4:5], 0x38
	s_waitcnt lgkmcnt(0)
	s_and_b32 s0, s0, 0xffff
	s_mul_i32 s6, s6, s0
	v_add_u32_e32 v0, s6, v0
	v_mul_hi_u32 v1, v0, s10
	s_load_dwordx4 s[0:3], s[4:5], 0x18
	s_waitcnt lgkmcnt(0)
	s_load_dword s3, s[4:5], 0x2c
	v_add_u32_e32 v1, v0, v1
	v_lshrrev_b32_e32 v1, s11, v1
	v_mul_lo_u32 v2, v1, s12
	v_sub_u32_e32 v0, v0, v2
	v_mul_hi_u32 v2, v0, s13
	v_add_u32_e32 v2, v0, v2
	v_lshrrev_b32_e32 v3, s14, v2
	v_mul_lo_u32 v2, v3, s15
	v_cmp_gt_u32_e32 vcc, s8, v3
	v_sub_u32_e32 v0, v0, v2
	v_mul_hi_u32 v2, v0, s0
	v_add_u32_e32 v2, v0, v2
	v_lshrrev_b32_e32 v4, s1, v2
	v_mul_lo_u32 v2, v4, s2
	s_waitcnt lgkmcnt(0)
	v_cmp_gt_u32_e64 s[0:1], s3, v4
	v_sub_u32_e32 v0, v0, v2
	v_cmp_gt_u32_e64 s[2:3], s2, v0
	s_and_b64 s[0:1], s[2:3], s[0:1]
	s_and_b64 s[0:1], s[0:1], vcc
	v_cmp_gt_u32_e32 vcc, s9, v1
	s_and_b64 s[0:1], vcc, s[0:1]
	s_and_saveexec_b64 s[2:3], s[0:1]
	s_cbranch_execz .LBB12_4
; %bb.1:
	s_load_dwordx2 s[6:7], s[4:5], 0x0
	s_load_dwordx4 s[0:3], s[4:5], 0xa8
	s_load_dwordx8 s[8:15], s[4:5], 0x88
	s_load_dwordx4 s[24:27], s[4:5], 0x78
	s_load_dwordx8 s[16:23], s[4:5], 0x58
	v_mov_b32_e32 v2, 0
	s_waitcnt lgkmcnt(0)
	s_cmp_eq_u64 s[6:7], 0
	v_mov_b32_e32 v5, 0
	s_cbranch_scc1 .LBB12_3
; %bb.2:
	v_mul_lo_u32 v5, v1, s14
	v_mul_lo_u32 v7, v3, s13
	;; [unrolled: 1-line block ×3, first 2 shown]
	v_mov_b32_e32 v6, 0
	v_mov_b32_e32 v9, s7
	v_add3_u32 v5, v7, v5, v8
	v_lshlrev_b64 v[7:8], 1, v[5:6]
	v_mul_lo_u32 v5, v0, s11
	v_add_co_u32_e32 v7, vcc, s6, v7
	v_addc_co_u32_e32 v8, vcc, v9, v8, vcc
	v_lshlrev_b64 v[5:6], 1, v[5:6]
	v_add_co_u32_e32 v5, vcc, v7, v5
	v_addc_co_u32_e32 v6, vcc, v8, v6, vcc
	global_load_ushort v5, v[5:6], off
	s_waitcnt vmcnt(0)
	v_cvt_f32_f16_e32 v5, v5
.LBB12_3:
	v_mul_hi_u32 v6, s19, v4
	v_mul_hi_u32 v7, s22, v3
	;; [unrolled: 1-line block ×4, first 2 shown]
	v_add_u32_e32 v6, v4, v6
	v_add_u32_e32 v7, v3, v7
	;; [unrolled: 1-line block ×3, first 2 shown]
	v_lshrrev_b32_e32 v6, s20, v6
	v_lshrrev_b32_e32 v7, s23, v7
	;; [unrolled: 1-line block ×3, first 2 shown]
	v_mul_lo_u32 v6, v6, s21
	v_mul_lo_u32 v7, v7, s24
	;; [unrolled: 1-line block ×3, first 2 shown]
	v_add_u32_e32 v9, v0, v9
	v_lshrrev_b32_e32 v9, s17, v9
	v_mul_lo_u32 v9, v9, s18
	v_sub_u32_e32 v6, v4, v6
	v_sub_u32_e32 v7, v3, v7
	;; [unrolled: 1-line block ×3, first 2 shown]
	v_mul_lo_u32 v8, v8, s2
	v_mul_lo_u32 v7, v7, s1
	v_mul_lo_u32 v10, v6, s0
	v_sub_u32_e32 v6, v0, v9
	v_mul_lo_u32 v6, v6, s15
	s_load_dwordx2 s[0:1], s[4:5], 0xb8
	v_add3_u32 v8, v7, v8, v10
	v_ashrrev_i32_e32 v9, 31, v8
	v_lshlrev_b64 v[8:9], 2, v[8:9]
	v_ashrrev_i32_e32 v7, 31, v6
	s_waitcnt lgkmcnt(0)
	v_mov_b32_e32 v10, s1
	v_add_co_u32_e32 v8, vcc, s0, v8
	v_lshlrev_b64 v[6:7], 2, v[6:7]
	v_addc_co_u32_e32 v9, vcc, v10, v9, vcc
	v_add_co_u32_e32 v6, vcc, v8, v6
	v_addc_co_u32_e32 v7, vcc, v9, v7, vcc
	global_load_dword v6, v[6:7], off
	v_mul_lo_u32 v7, v1, s10
	v_mul_lo_u32 v8, v3, s9
	;; [unrolled: 1-line block ×3, first 2 shown]
	s_load_dwordx2 s[0:1], s[4:5], 0x10
	v_mov_b32_e32 v1, v2
	v_lshlrev_b64 v[3:4], 1, v[0:1]
	v_add3_u32 v1, v8, v7, v9
	v_lshlrev_b64 v[0:1], 1, v[1:2]
	s_waitcnt lgkmcnt(0)
	v_mov_b32_e32 v2, s1
	v_add_co_u32_e32 v0, vcc, s0, v0
	v_addc_co_u32_e32 v1, vcc, v2, v1, vcc
	v_add_co_u32_e32 v0, vcc, v0, v3
	v_addc_co_u32_e32 v1, vcc, v1, v4, vcc
	s_waitcnt vmcnt(0)
	v_add_f32_e32 v2, v5, v6
	v_cvt_f16_f32_e32 v2, v2
	global_store_short v[0:1], v2, off
.LBB12_4:
	s_endpgm
	.section	.rodata,"a",@progbits
	.p2align	6, 0x0
	.amdhsa_kernel _ZL19k_bin_bcast_unravelIXadL_ZL6op_addffEE6__halffS0_JPKfEEvPKT0_PKT1_PT2_15HIP_vector_typeIjLj3EESC_SC_jSC_SC_SC_SC_SC_SC_iiiiiiiiiiiDpT3_
		.amdhsa_group_segment_fixed_size 0
		.amdhsa_private_segment_fixed_size 0
		.amdhsa_kernarg_size 448
		.amdhsa_user_sgpr_count 6
		.amdhsa_user_sgpr_private_segment_buffer 1
		.amdhsa_user_sgpr_dispatch_ptr 0
		.amdhsa_user_sgpr_queue_ptr 0
		.amdhsa_user_sgpr_kernarg_segment_ptr 1
		.amdhsa_user_sgpr_dispatch_id 0
		.amdhsa_user_sgpr_flat_scratch_init 0
		.amdhsa_user_sgpr_private_segment_size 0
		.amdhsa_uses_dynamic_stack 0
		.amdhsa_system_sgpr_private_segment_wavefront_offset 0
		.amdhsa_system_sgpr_workgroup_id_x 1
		.amdhsa_system_sgpr_workgroup_id_y 0
		.amdhsa_system_sgpr_workgroup_id_z 0
		.amdhsa_system_sgpr_workgroup_info 0
		.amdhsa_system_vgpr_workitem_id 0
		.amdhsa_next_free_vgpr 11
		.amdhsa_next_free_sgpr 28
		.amdhsa_reserve_vcc 1
		.amdhsa_reserve_flat_scratch 0
		.amdhsa_float_round_mode_32 0
		.amdhsa_float_round_mode_16_64 0
		.amdhsa_float_denorm_mode_32 3
		.amdhsa_float_denorm_mode_16_64 3
		.amdhsa_dx10_clamp 1
		.amdhsa_ieee_mode 1
		.amdhsa_fp16_overflow 0
		.amdhsa_exception_fp_ieee_invalid_op 0
		.amdhsa_exception_fp_denorm_src 0
		.amdhsa_exception_fp_ieee_div_zero 0
		.amdhsa_exception_fp_ieee_overflow 0
		.amdhsa_exception_fp_ieee_underflow 0
		.amdhsa_exception_fp_ieee_inexact 0
		.amdhsa_exception_int_div_zero 0
	.end_amdhsa_kernel
	.section	.text._ZL19k_bin_bcast_unravelIXadL_ZL6op_addffEE6__halffS0_JPKfEEvPKT0_PKT1_PT2_15HIP_vector_typeIjLj3EESC_SC_jSC_SC_SC_SC_SC_SC_iiiiiiiiiiiDpT3_,"axG",@progbits,_ZL19k_bin_bcast_unravelIXadL_ZL6op_addffEE6__halffS0_JPKfEEvPKT0_PKT1_PT2_15HIP_vector_typeIjLj3EESC_SC_jSC_SC_SC_SC_SC_SC_iiiiiiiiiiiDpT3_,comdat
.Lfunc_end12:
	.size	_ZL19k_bin_bcast_unravelIXadL_ZL6op_addffEE6__halffS0_JPKfEEvPKT0_PKT1_PT2_15HIP_vector_typeIjLj3EESC_SC_jSC_SC_SC_SC_SC_SC_iiiiiiiiiiiDpT3_, .Lfunc_end12-_ZL19k_bin_bcast_unravelIXadL_ZL6op_addffEE6__halffS0_JPKfEEvPKT0_PKT1_PT2_15HIP_vector_typeIjLj3EESC_SC_jSC_SC_SC_SC_SC_SC_iiiiiiiiiiiDpT3_
                                        ; -- End function
	.set _ZL19k_bin_bcast_unravelIXadL_ZL6op_addffEE6__halffS0_JPKfEEvPKT0_PKT1_PT2_15HIP_vector_typeIjLj3EESC_SC_jSC_SC_SC_SC_SC_SC_iiiiiiiiiiiDpT3_.num_vgpr, 11
	.set _ZL19k_bin_bcast_unravelIXadL_ZL6op_addffEE6__halffS0_JPKfEEvPKT0_PKT1_PT2_15HIP_vector_typeIjLj3EESC_SC_jSC_SC_SC_SC_SC_SC_iiiiiiiiiiiDpT3_.num_agpr, 0
	.set _ZL19k_bin_bcast_unravelIXadL_ZL6op_addffEE6__halffS0_JPKfEEvPKT0_PKT1_PT2_15HIP_vector_typeIjLj3EESC_SC_jSC_SC_SC_SC_SC_SC_iiiiiiiiiiiDpT3_.numbered_sgpr, 28
	.set _ZL19k_bin_bcast_unravelIXadL_ZL6op_addffEE6__halffS0_JPKfEEvPKT0_PKT1_PT2_15HIP_vector_typeIjLj3EESC_SC_jSC_SC_SC_SC_SC_SC_iiiiiiiiiiiDpT3_.num_named_barrier, 0
	.set _ZL19k_bin_bcast_unravelIXadL_ZL6op_addffEE6__halffS0_JPKfEEvPKT0_PKT1_PT2_15HIP_vector_typeIjLj3EESC_SC_jSC_SC_SC_SC_SC_SC_iiiiiiiiiiiDpT3_.private_seg_size, 0
	.set _ZL19k_bin_bcast_unravelIXadL_ZL6op_addffEE6__halffS0_JPKfEEvPKT0_PKT1_PT2_15HIP_vector_typeIjLj3EESC_SC_jSC_SC_SC_SC_SC_SC_iiiiiiiiiiiDpT3_.uses_vcc, 1
	.set _ZL19k_bin_bcast_unravelIXadL_ZL6op_addffEE6__halffS0_JPKfEEvPKT0_PKT1_PT2_15HIP_vector_typeIjLj3EESC_SC_jSC_SC_SC_SC_SC_SC_iiiiiiiiiiiDpT3_.uses_flat_scratch, 0
	.set _ZL19k_bin_bcast_unravelIXadL_ZL6op_addffEE6__halffS0_JPKfEEvPKT0_PKT1_PT2_15HIP_vector_typeIjLj3EESC_SC_jSC_SC_SC_SC_SC_SC_iiiiiiiiiiiDpT3_.has_dyn_sized_stack, 0
	.set _ZL19k_bin_bcast_unravelIXadL_ZL6op_addffEE6__halffS0_JPKfEEvPKT0_PKT1_PT2_15HIP_vector_typeIjLj3EESC_SC_jSC_SC_SC_SC_SC_SC_iiiiiiiiiiiDpT3_.has_recursion, 0
	.set _ZL19k_bin_bcast_unravelIXadL_ZL6op_addffEE6__halffS0_JPKfEEvPKT0_PKT1_PT2_15HIP_vector_typeIjLj3EESC_SC_jSC_SC_SC_SC_SC_SC_iiiiiiiiiiiDpT3_.has_indirect_call, 0
	.section	.AMDGPU.csdata,"",@progbits
; Kernel info:
; codeLenInByte = 668
; TotalNumSgprs: 32
; NumVgprs: 11
; ScratchSize: 0
; MemoryBound: 0
; FloatMode: 240
; IeeeMode: 1
; LDSByteSize: 0 bytes/workgroup (compile time only)
; SGPRBlocks: 3
; VGPRBlocks: 2
; NumSGPRsForWavesPerEU: 32
; NumVGPRsForWavesPerEU: 11
; Occupancy: 10
; WaveLimiterHint : 1
; COMPUTE_PGM_RSRC2:SCRATCH_EN: 0
; COMPUTE_PGM_RSRC2:USER_SGPR: 6
; COMPUTE_PGM_RSRC2:TRAP_HANDLER: 0
; COMPUTE_PGM_RSRC2:TGID_X_EN: 1
; COMPUTE_PGM_RSRC2:TGID_Y_EN: 0
; COMPUTE_PGM_RSRC2:TGID_Z_EN: 0
; COMPUTE_PGM_RSRC2:TIDIG_COMP_CNT: 0
	.section	.text._ZL11k_bin_bcastIXadL_ZL6op_addffEE6__halffS0_JPKfEEvPKT0_PKT1_PT2_iii15HIP_vector_typeIjLj3EESC_SC_SC_SC_iiiiiiiiiiiDpT3_,"axG",@progbits,_ZL11k_bin_bcastIXadL_ZL6op_addffEE6__halffS0_JPKfEEvPKT0_PKT1_PT2_iii15HIP_vector_typeIjLj3EESC_SC_SC_SC_iiiiiiiiiiiDpT3_,comdat
	.globl	_ZL11k_bin_bcastIXadL_ZL6op_addffEE6__halffS0_JPKfEEvPKT0_PKT1_PT2_iii15HIP_vector_typeIjLj3EESC_SC_SC_SC_iiiiiiiiiiiDpT3_ ; -- Begin function _ZL11k_bin_bcastIXadL_ZL6op_addffEE6__halffS0_JPKfEEvPKT0_PKT1_PT2_iii15HIP_vector_typeIjLj3EESC_SC_SC_SC_iiiiiiiiiiiDpT3_
	.p2align	8
	.type	_ZL11k_bin_bcastIXadL_ZL6op_addffEE6__halffS0_JPKfEEvPKT0_PKT1_PT2_iii15HIP_vector_typeIjLj3EESC_SC_SC_SC_iiiiiiiiiiiDpT3_,@function
_ZL11k_bin_bcastIXadL_ZL6op_addffEE6__halffS0_JPKfEEvPKT0_PKT1_PT2_iii15HIP_vector_typeIjLj3EESC_SC_SC_SC_iiiiiiiiiiiDpT3_: ; @_ZL11k_bin_bcastIXadL_ZL6op_addffEE6__halffS0_JPKfEEvPKT0_PKT1_PT2_iii15HIP_vector_typeIjLj3EESC_SC_SC_SC_iiiiiiiiiiiDpT3_
; %bb.0:
	s_load_dwordx2 s[0:1], s[4:5], 0xa4
	s_load_dwordx8 s[12:19], s[4:5], 0x18
	s_add_u32 s2, s4, 0x98
	s_addc_u32 s3, s5, 0
	s_waitcnt lgkmcnt(0)
	s_and_b32 s1, s1, 0xffff
	s_mul_i32 s8, s8, s1
	v_add_u32_e32 v2, s8, v2
	v_mul_hi_u32 v3, v2, s15
	s_lshr_b32 s1, s0, 16
	s_and_b32 s8, s0, 0xffff
	s_mul_i32 s6, s6, s8
	v_add_u32_e32 v3, v2, v3
	v_lshrrev_b32_e32 v7, s16, v3
	v_mul_lo_u32 v4, v7, s17
	s_mul_i32 s7, s7, s1
	v_add_u32_e32 v0, s6, v0
	v_add_u32_e32 v3, s7, v1
	v_cmp_gt_u32_e32 vcc, s12, v0
	v_cmp_gt_u32_e64 s[0:1], s13, v3
	v_sub_u32_e32 v4, v2, v4
	s_and_b64 s[0:1], vcc, s[0:1]
	v_cmp_gt_u32_e32 vcc, s14, v7
	s_and_b64 s[0:1], s[0:1], vcc
	v_cmp_gt_u32_e32 vcc, s17, v4
	s_and_b64 s[0:1], s[0:1], vcc
	s_and_saveexec_b64 s[6:7], s[0:1]
	s_cbranch_execz .LBB13_6
; %bb.1:
	v_cmp_gt_i32_e32 vcc, s12, v0
	s_and_b64 exec, exec, vcc
	s_cbranch_execz .LBB13_6
; %bb.2:
	s_load_dwordx8 s[20:27], s[4:5], 0x60
	s_load_dword s9, s[2:3], 0x0
	s_load_dwordx2 s[6:7], s[4:5], 0x0
	s_load_dwordx8 s[36:43], s[4:5], 0x3c
	s_load_dword s13, s[4:5], 0x38
	s_load_dwordx2 s[10:11], s[4:5], 0x10
	s_nop 0
	s_load_dwordx4 s[0:3], s[4:5], 0x80
	s_load_dwordx2 s[14:15], s[4:5], 0x90
	s_waitcnt lgkmcnt(0)
	v_mul_lo_u32 v8, v4, s22
	v_mul_lo_u32 v9, v7, s21
	;; [unrolled: 1-line block ×4, first 2 shown]
	v_mul_hi_u32 v11, s42, v4
	s_load_dword s3, s[4:5], 0x5c
	v_add3_u32 v8, v9, v10, v8
	v_mul_hi_u32 v10, s39, v7
	v_add_u32_e32 v11, v4, v11
	v_mul_lo_u32 v1, v4, s26
	v_mul_lo_u32 v6, v3, s24
	v_add_u32_e32 v10, v7, v10
	v_lshrrev_b32_e32 v10, s40, v10
	v_mul_lo_u32 v10, v10, s41
	v_lshrrev_b32_e32 v11, s43, v11
	s_waitcnt lgkmcnt(0)
	v_mul_lo_u32 v11, v11, s3
	v_mov_b32_e32 v2, 0
	v_sub_u32_e32 v7, v7, v10
	v_mul_hi_u32 v10, s36, v3
	v_add3_u32 v1, v5, v6, v1
	v_lshlrev_b64 v[5:6], 1, v[1:2]
	v_sub_u32_e32 v4, v4, v11
	v_add_u32_e32 v10, v3, v10
	v_lshrrev_b32_e32 v10, s37, v10
	v_mul_lo_u32 v10, v10, s38
	v_mov_b32_e32 v9, v2
	v_mul_lo_u32 v12, v7, s1
	v_mul_lo_u32 v4, v4, s2
	v_sub_u32_e32 v3, v3, v10
	v_mul_lo_u32 v3, v3, s0
	v_mov_b32_e32 v1, s7
	v_add_co_u32_e32 v5, vcc, s6, v5
	v_lshlrev_b64 v[8:9], 1, v[8:9]
	v_addc_co_u32_e32 v6, vcc, v1, v6, vcc
	v_mov_b32_e32 v1, s11
	v_add_co_u32_e32 v7, vcc, s10, v8
	v_addc_co_u32_e32 v8, vcc, v1, v9, vcc
	v_add3_u32 v1, v12, v4, v3
	v_lshlrev_b64 v[3:4], 2, v[1:2]
	s_cmp_lg_u64 s[6:7], 0
	v_add_co_u32_e32 v9, vcc, s14, v3
	v_mul_lo_u32 v3, s23, v0
	s_cselect_b64 s[0:1], -1, 0
	v_mov_b32_e32 v1, s15
	v_addc_co_u32_e32 v10, vcc, v1, v4, vcc
	s_mul_i32 s6, s9, s8
	v_cndmask_b32_e64 v1, 0, 1, s[0:1]
	s_mov_b64 s[4:5], 0
	s_mul_i32 s7, s6, s23
	s_sub_i32 s8, 0, s13
	v_cmp_ne_u32_e64 s[0:1], 1, v1
	s_branch .LBB13_4
.LBB13_3:                               ;   in Loop: Header=BB13_4 Depth=1
	v_mul_hi_u32 v1, s18, v0
	v_add_u32_e32 v3, s7, v3
	v_add_u32_e32 v1, v0, v1
	v_lshrrev_b32_e32 v1, s19, v1
	v_mad_u64_u32 v[11:12], s[2:3], s8, v1, v[0:1]
	v_mul_lo_u32 v1, v11, s27
	v_lshlrev_b64 v[11:12], 2, v[1:2]
	v_ashrrev_i32_e32 v1, 31, v0
	v_add_co_u32_e32 v11, vcc, v9, v11
	v_addc_co_u32_e32 v12, vcc, v10, v12, vcc
	global_load_dword v13, v[11:12], off
	v_lshlrev_b64 v[11:12], 1, v[0:1]
	v_add_u32_e32 v0, s6, v0
	v_cmp_le_i32_e32 vcc, s12, v0
	v_add_co_u32_e64 v11, s[2:3], v7, v11
	v_addc_co_u32_e64 v12, s[2:3], v8, v12, s[2:3]
	s_or_b64 s[4:5], vcc, s[4:5]
	s_waitcnt vmcnt(0)
	v_add_f32_e32 v1, v4, v13
	v_cvt_f16_f32_e32 v1, v1
	global_store_short v[11:12], v1, off
	s_andn2_b64 exec, exec, s[4:5]
	s_cbranch_execz .LBB13_6
.LBB13_4:                               ; =>This Inner Loop Header: Depth=1
	s_and_b64 vcc, exec, s[0:1]
	v_mov_b32_e32 v4, 0
	s_cbranch_vccnz .LBB13_3
; %bb.5:                                ;   in Loop: Header=BB13_4 Depth=1
	v_ashrrev_i32_e32 v4, 31, v3
	v_lshlrev_b64 v[11:12], 1, v[3:4]
	v_add_co_u32_e32 v11, vcc, v5, v11
	v_addc_co_u32_e32 v12, vcc, v6, v12, vcc
	global_load_ushort v1, v[11:12], off
	s_waitcnt vmcnt(0)
	v_cvt_f32_f16_e32 v4, v1
	s_branch .LBB13_3
.LBB13_6:
	s_endpgm
	.section	.rodata,"a",@progbits
	.p2align	6, 0x0
	.amdhsa_kernel _ZL11k_bin_bcastIXadL_ZL6op_addffEE6__halffS0_JPKfEEvPKT0_PKT1_PT2_iii15HIP_vector_typeIjLj3EESC_SC_SC_SC_iiiiiiiiiiiDpT3_
		.amdhsa_group_segment_fixed_size 0
		.amdhsa_private_segment_fixed_size 0
		.amdhsa_kernarg_size 408
		.amdhsa_user_sgpr_count 6
		.amdhsa_user_sgpr_private_segment_buffer 1
		.amdhsa_user_sgpr_dispatch_ptr 0
		.amdhsa_user_sgpr_queue_ptr 0
		.amdhsa_user_sgpr_kernarg_segment_ptr 1
		.amdhsa_user_sgpr_dispatch_id 0
		.amdhsa_user_sgpr_flat_scratch_init 0
		.amdhsa_user_sgpr_private_segment_size 0
		.amdhsa_uses_dynamic_stack 0
		.amdhsa_system_sgpr_private_segment_wavefront_offset 0
		.amdhsa_system_sgpr_workgroup_id_x 1
		.amdhsa_system_sgpr_workgroup_id_y 1
		.amdhsa_system_sgpr_workgroup_id_z 1
		.amdhsa_system_sgpr_workgroup_info 0
		.amdhsa_system_vgpr_workitem_id 2
		.amdhsa_next_free_vgpr 14
		.amdhsa_next_free_sgpr 44
		.amdhsa_reserve_vcc 1
		.amdhsa_reserve_flat_scratch 0
		.amdhsa_float_round_mode_32 0
		.amdhsa_float_round_mode_16_64 0
		.amdhsa_float_denorm_mode_32 3
		.amdhsa_float_denorm_mode_16_64 3
		.amdhsa_dx10_clamp 1
		.amdhsa_ieee_mode 1
		.amdhsa_fp16_overflow 0
		.amdhsa_exception_fp_ieee_invalid_op 0
		.amdhsa_exception_fp_denorm_src 0
		.amdhsa_exception_fp_ieee_div_zero 0
		.amdhsa_exception_fp_ieee_overflow 0
		.amdhsa_exception_fp_ieee_underflow 0
		.amdhsa_exception_fp_ieee_inexact 0
		.amdhsa_exception_int_div_zero 0
	.end_amdhsa_kernel
	.section	.text._ZL11k_bin_bcastIXadL_ZL6op_addffEE6__halffS0_JPKfEEvPKT0_PKT1_PT2_iii15HIP_vector_typeIjLj3EESC_SC_SC_SC_iiiiiiiiiiiDpT3_,"axG",@progbits,_ZL11k_bin_bcastIXadL_ZL6op_addffEE6__halffS0_JPKfEEvPKT0_PKT1_PT2_iii15HIP_vector_typeIjLj3EESC_SC_SC_SC_iiiiiiiiiiiDpT3_,comdat
.Lfunc_end13:
	.size	_ZL11k_bin_bcastIXadL_ZL6op_addffEE6__halffS0_JPKfEEvPKT0_PKT1_PT2_iii15HIP_vector_typeIjLj3EESC_SC_SC_SC_iiiiiiiiiiiDpT3_, .Lfunc_end13-_ZL11k_bin_bcastIXadL_ZL6op_addffEE6__halffS0_JPKfEEvPKT0_PKT1_PT2_iii15HIP_vector_typeIjLj3EESC_SC_SC_SC_iiiiiiiiiiiDpT3_
                                        ; -- End function
	.set _ZL11k_bin_bcastIXadL_ZL6op_addffEE6__halffS0_JPKfEEvPKT0_PKT1_PT2_iii15HIP_vector_typeIjLj3EESC_SC_SC_SC_iiiiiiiiiiiDpT3_.num_vgpr, 14
	.set _ZL11k_bin_bcastIXadL_ZL6op_addffEE6__halffS0_JPKfEEvPKT0_PKT1_PT2_iii15HIP_vector_typeIjLj3EESC_SC_SC_SC_iiiiiiiiiiiDpT3_.num_agpr, 0
	.set _ZL11k_bin_bcastIXadL_ZL6op_addffEE6__halffS0_JPKfEEvPKT0_PKT1_PT2_iii15HIP_vector_typeIjLj3EESC_SC_SC_SC_iiiiiiiiiiiDpT3_.numbered_sgpr, 44
	.set _ZL11k_bin_bcastIXadL_ZL6op_addffEE6__halffS0_JPKfEEvPKT0_PKT1_PT2_iii15HIP_vector_typeIjLj3EESC_SC_SC_SC_iiiiiiiiiiiDpT3_.num_named_barrier, 0
	.set _ZL11k_bin_bcastIXadL_ZL6op_addffEE6__halffS0_JPKfEEvPKT0_PKT1_PT2_iii15HIP_vector_typeIjLj3EESC_SC_SC_SC_iiiiiiiiiiiDpT3_.private_seg_size, 0
	.set _ZL11k_bin_bcastIXadL_ZL6op_addffEE6__halffS0_JPKfEEvPKT0_PKT1_PT2_iii15HIP_vector_typeIjLj3EESC_SC_SC_SC_iiiiiiiiiiiDpT3_.uses_vcc, 1
	.set _ZL11k_bin_bcastIXadL_ZL6op_addffEE6__halffS0_JPKfEEvPKT0_PKT1_PT2_iii15HIP_vector_typeIjLj3EESC_SC_SC_SC_iiiiiiiiiiiDpT3_.uses_flat_scratch, 0
	.set _ZL11k_bin_bcastIXadL_ZL6op_addffEE6__halffS0_JPKfEEvPKT0_PKT1_PT2_iii15HIP_vector_typeIjLj3EESC_SC_SC_SC_iiiiiiiiiiiDpT3_.has_dyn_sized_stack, 0
	.set _ZL11k_bin_bcastIXadL_ZL6op_addffEE6__halffS0_JPKfEEvPKT0_PKT1_PT2_iii15HIP_vector_typeIjLj3EESC_SC_SC_SC_iiiiiiiiiiiDpT3_.has_recursion, 0
	.set _ZL11k_bin_bcastIXadL_ZL6op_addffEE6__halffS0_JPKfEEvPKT0_PKT1_PT2_iii15HIP_vector_typeIjLj3EESC_SC_SC_SC_iiiiiiiiiiiDpT3_.has_indirect_call, 0
	.section	.AMDGPU.csdata,"",@progbits
; Kernel info:
; codeLenInByte = 724
; TotalNumSgprs: 48
; NumVgprs: 14
; ScratchSize: 0
; MemoryBound: 0
; FloatMode: 240
; IeeeMode: 1
; LDSByteSize: 0 bytes/workgroup (compile time only)
; SGPRBlocks: 5
; VGPRBlocks: 3
; NumSGPRsForWavesPerEU: 48
; NumVGPRsForWavesPerEU: 14
; Occupancy: 10
; WaveLimiterHint : 1
; COMPUTE_PGM_RSRC2:SCRATCH_EN: 0
; COMPUTE_PGM_RSRC2:USER_SGPR: 6
; COMPUTE_PGM_RSRC2:TRAP_HANDLER: 0
; COMPUTE_PGM_RSRC2:TGID_X_EN: 1
; COMPUTE_PGM_RSRC2:TGID_Y_EN: 1
; COMPUTE_PGM_RSRC2:TGID_Z_EN: 1
; COMPUTE_PGM_RSRC2:TIDIG_COMP_CNT: 2
	.section	.text._ZL19k_bin_bcast_unravelIXadL_ZL6op_addffEE6__halfffJPKfEEvPKT0_PKT1_PT2_15HIP_vector_typeIjLj3EESC_SC_jSC_SC_SC_SC_SC_SC_iiiiiiiiiiiDpT3_,"axG",@progbits,_ZL19k_bin_bcast_unravelIXadL_ZL6op_addffEE6__halfffJPKfEEvPKT0_PKT1_PT2_15HIP_vector_typeIjLj3EESC_SC_jSC_SC_SC_SC_SC_SC_iiiiiiiiiiiDpT3_,comdat
	.globl	_ZL19k_bin_bcast_unravelIXadL_ZL6op_addffEE6__halfffJPKfEEvPKT0_PKT1_PT2_15HIP_vector_typeIjLj3EESC_SC_jSC_SC_SC_SC_SC_SC_iiiiiiiiiiiDpT3_ ; -- Begin function _ZL19k_bin_bcast_unravelIXadL_ZL6op_addffEE6__halfffJPKfEEvPKT0_PKT1_PT2_15HIP_vector_typeIjLj3EESC_SC_jSC_SC_SC_SC_SC_SC_iiiiiiiiiiiDpT3_
	.p2align	8
	.type	_ZL19k_bin_bcast_unravelIXadL_ZL6op_addffEE6__halfffJPKfEEvPKT0_PKT1_PT2_15HIP_vector_typeIjLj3EESC_SC_jSC_SC_SC_SC_SC_SC_iiiiiiiiiiiDpT3_,@function
_ZL19k_bin_bcast_unravelIXadL_ZL6op_addffEE6__halfffJPKfEEvPKT0_PKT1_PT2_15HIP_vector_typeIjLj3EESC_SC_jSC_SC_SC_SC_SC_SC_iiiiiiiiiiiDpT3_: ; @_ZL19k_bin_bcast_unravelIXadL_ZL6op_addffEE6__halfffJPKfEEvPKT0_PKT1_PT2_15HIP_vector_typeIjLj3EESC_SC_jSC_SC_SC_SC_SC_SC_iiiiiiiiiiiDpT3_
; %bb.0:
	s_load_dword s0, s[4:5], 0xcc
	s_load_dwordx8 s[8:15], s[4:5], 0x38
	s_waitcnt lgkmcnt(0)
	s_and_b32 s0, s0, 0xffff
	s_mul_i32 s6, s6, s0
	v_add_u32_e32 v0, s6, v0
	v_mul_hi_u32 v1, v0, s10
	s_load_dwordx4 s[0:3], s[4:5], 0x18
	s_waitcnt lgkmcnt(0)
	s_load_dword s3, s[4:5], 0x2c
	v_add_u32_e32 v1, v0, v1
	v_lshrrev_b32_e32 v1, s11, v1
	v_mul_lo_u32 v2, v1, s12
	v_sub_u32_e32 v0, v0, v2
	v_mul_hi_u32 v2, v0, s13
	v_add_u32_e32 v2, v0, v2
	v_lshrrev_b32_e32 v3, s14, v2
	v_mul_lo_u32 v2, v3, s15
	v_cmp_gt_u32_e32 vcc, s8, v3
	v_sub_u32_e32 v0, v0, v2
	v_mul_hi_u32 v2, v0, s0
	v_add_u32_e32 v2, v0, v2
	v_lshrrev_b32_e32 v4, s1, v2
	v_mul_lo_u32 v2, v4, s2
	s_waitcnt lgkmcnt(0)
	v_cmp_gt_u32_e64 s[0:1], s3, v4
	v_sub_u32_e32 v0, v0, v2
	v_cmp_gt_u32_e64 s[2:3], s2, v0
	s_and_b64 s[0:1], s[2:3], s[0:1]
	s_and_b64 s[0:1], s[0:1], vcc
	v_cmp_gt_u32_e32 vcc, s9, v1
	s_and_b64 s[0:1], vcc, s[0:1]
	s_and_saveexec_b64 s[2:3], s[0:1]
	s_cbranch_execz .LBB14_4
; %bb.1:
	s_load_dwordx2 s[6:7], s[4:5], 0x0
	s_load_dwordx4 s[0:3], s[4:5], 0xa8
	s_load_dwordx8 s[8:15], s[4:5], 0x88
	s_load_dwordx4 s[24:27], s[4:5], 0x78
	s_load_dwordx8 s[16:23], s[4:5], 0x58
	v_mov_b32_e32 v2, 0
	s_waitcnt lgkmcnt(0)
	s_cmp_eq_u64 s[6:7], 0
	v_mov_b32_e32 v5, 0
	s_cbranch_scc1 .LBB14_3
; %bb.2:
	v_mul_lo_u32 v5, v1, s14
	v_mul_lo_u32 v7, v3, s13
	;; [unrolled: 1-line block ×3, first 2 shown]
	v_mov_b32_e32 v6, 0
	v_mov_b32_e32 v9, s7
	v_add3_u32 v5, v7, v5, v8
	v_lshlrev_b64 v[7:8], 1, v[5:6]
	v_mul_lo_u32 v5, v0, s11
	v_add_co_u32_e32 v7, vcc, s6, v7
	v_addc_co_u32_e32 v8, vcc, v9, v8, vcc
	v_lshlrev_b64 v[5:6], 1, v[5:6]
	v_add_co_u32_e32 v5, vcc, v7, v5
	v_addc_co_u32_e32 v6, vcc, v8, v6, vcc
	global_load_ushort v5, v[5:6], off
	s_waitcnt vmcnt(0)
	v_cvt_f32_f16_e32 v5, v5
.LBB14_3:
	v_mul_hi_u32 v6, s19, v4
	v_mul_hi_u32 v7, s22, v3
	;; [unrolled: 1-line block ×4, first 2 shown]
	v_add_u32_e32 v6, v4, v6
	v_add_u32_e32 v7, v3, v7
	;; [unrolled: 1-line block ×3, first 2 shown]
	v_lshrrev_b32_e32 v6, s20, v6
	v_lshrrev_b32_e32 v7, s23, v7
	;; [unrolled: 1-line block ×3, first 2 shown]
	v_mul_lo_u32 v6, v6, s21
	v_mul_lo_u32 v7, v7, s24
	;; [unrolled: 1-line block ×3, first 2 shown]
	v_add_u32_e32 v9, v0, v9
	v_lshrrev_b32_e32 v9, s17, v9
	v_mul_lo_u32 v9, v9, s18
	v_sub_u32_e32 v6, v4, v6
	v_sub_u32_e32 v7, v3, v7
	;; [unrolled: 1-line block ×3, first 2 shown]
	v_mul_lo_u32 v8, v8, s2
	v_mul_lo_u32 v7, v7, s1
	;; [unrolled: 1-line block ×3, first 2 shown]
	v_sub_u32_e32 v6, v0, v9
	v_mul_lo_u32 v6, v6, s15
	s_load_dwordx2 s[0:1], s[4:5], 0xb8
	v_add3_u32 v8, v7, v8, v10
	v_ashrrev_i32_e32 v9, 31, v8
	v_lshlrev_b64 v[8:9], 2, v[8:9]
	v_ashrrev_i32_e32 v7, 31, v6
	s_waitcnt lgkmcnt(0)
	v_mov_b32_e32 v10, s1
	v_add_co_u32_e32 v8, vcc, s0, v8
	v_lshlrev_b64 v[6:7], 2, v[6:7]
	v_addc_co_u32_e32 v9, vcc, v10, v9, vcc
	v_add_co_u32_e32 v6, vcc, v8, v6
	v_addc_co_u32_e32 v7, vcc, v9, v7, vcc
	global_load_dword v6, v[6:7], off
	v_mul_lo_u32 v7, v1, s10
	v_mul_lo_u32 v8, v3, s9
	;; [unrolled: 1-line block ×3, first 2 shown]
	s_load_dwordx2 s[0:1], s[4:5], 0x10
	v_mov_b32_e32 v1, v2
	v_lshlrev_b64 v[3:4], 2, v[0:1]
	v_add3_u32 v1, v8, v7, v9
	v_lshlrev_b64 v[0:1], 2, v[1:2]
	s_waitcnt lgkmcnt(0)
	v_mov_b32_e32 v2, s1
	v_add_co_u32_e32 v0, vcc, s0, v0
	v_addc_co_u32_e32 v1, vcc, v2, v1, vcc
	v_add_co_u32_e32 v0, vcc, v0, v3
	v_addc_co_u32_e32 v1, vcc, v1, v4, vcc
	s_waitcnt vmcnt(0)
	v_add_f32_e32 v2, v5, v6
	global_store_dword v[0:1], v2, off
.LBB14_4:
	s_endpgm
	.section	.rodata,"a",@progbits
	.p2align	6, 0x0
	.amdhsa_kernel _ZL19k_bin_bcast_unravelIXadL_ZL6op_addffEE6__halfffJPKfEEvPKT0_PKT1_PT2_15HIP_vector_typeIjLj3EESC_SC_jSC_SC_SC_SC_SC_SC_iiiiiiiiiiiDpT3_
		.amdhsa_group_segment_fixed_size 0
		.amdhsa_private_segment_fixed_size 0
		.amdhsa_kernarg_size 448
		.amdhsa_user_sgpr_count 6
		.amdhsa_user_sgpr_private_segment_buffer 1
		.amdhsa_user_sgpr_dispatch_ptr 0
		.amdhsa_user_sgpr_queue_ptr 0
		.amdhsa_user_sgpr_kernarg_segment_ptr 1
		.amdhsa_user_sgpr_dispatch_id 0
		.amdhsa_user_sgpr_flat_scratch_init 0
		.amdhsa_user_sgpr_private_segment_size 0
		.amdhsa_uses_dynamic_stack 0
		.amdhsa_system_sgpr_private_segment_wavefront_offset 0
		.amdhsa_system_sgpr_workgroup_id_x 1
		.amdhsa_system_sgpr_workgroup_id_y 0
		.amdhsa_system_sgpr_workgroup_id_z 0
		.amdhsa_system_sgpr_workgroup_info 0
		.amdhsa_system_vgpr_workitem_id 0
		.amdhsa_next_free_vgpr 11
		.amdhsa_next_free_sgpr 28
		.amdhsa_reserve_vcc 1
		.amdhsa_reserve_flat_scratch 0
		.amdhsa_float_round_mode_32 0
		.amdhsa_float_round_mode_16_64 0
		.amdhsa_float_denorm_mode_32 3
		.amdhsa_float_denorm_mode_16_64 3
		.amdhsa_dx10_clamp 1
		.amdhsa_ieee_mode 1
		.amdhsa_fp16_overflow 0
		.amdhsa_exception_fp_ieee_invalid_op 0
		.amdhsa_exception_fp_denorm_src 0
		.amdhsa_exception_fp_ieee_div_zero 0
		.amdhsa_exception_fp_ieee_overflow 0
		.amdhsa_exception_fp_ieee_underflow 0
		.amdhsa_exception_fp_ieee_inexact 0
		.amdhsa_exception_int_div_zero 0
	.end_amdhsa_kernel
	.section	.text._ZL19k_bin_bcast_unravelIXadL_ZL6op_addffEE6__halfffJPKfEEvPKT0_PKT1_PT2_15HIP_vector_typeIjLj3EESC_SC_jSC_SC_SC_SC_SC_SC_iiiiiiiiiiiDpT3_,"axG",@progbits,_ZL19k_bin_bcast_unravelIXadL_ZL6op_addffEE6__halfffJPKfEEvPKT0_PKT1_PT2_15HIP_vector_typeIjLj3EESC_SC_jSC_SC_SC_SC_SC_SC_iiiiiiiiiiiDpT3_,comdat
.Lfunc_end14:
	.size	_ZL19k_bin_bcast_unravelIXadL_ZL6op_addffEE6__halfffJPKfEEvPKT0_PKT1_PT2_15HIP_vector_typeIjLj3EESC_SC_jSC_SC_SC_SC_SC_SC_iiiiiiiiiiiDpT3_, .Lfunc_end14-_ZL19k_bin_bcast_unravelIXadL_ZL6op_addffEE6__halfffJPKfEEvPKT0_PKT1_PT2_15HIP_vector_typeIjLj3EESC_SC_jSC_SC_SC_SC_SC_SC_iiiiiiiiiiiDpT3_
                                        ; -- End function
	.set _ZL19k_bin_bcast_unravelIXadL_ZL6op_addffEE6__halfffJPKfEEvPKT0_PKT1_PT2_15HIP_vector_typeIjLj3EESC_SC_jSC_SC_SC_SC_SC_SC_iiiiiiiiiiiDpT3_.num_vgpr, 11
	.set _ZL19k_bin_bcast_unravelIXadL_ZL6op_addffEE6__halfffJPKfEEvPKT0_PKT1_PT2_15HIP_vector_typeIjLj3EESC_SC_jSC_SC_SC_SC_SC_SC_iiiiiiiiiiiDpT3_.num_agpr, 0
	.set _ZL19k_bin_bcast_unravelIXadL_ZL6op_addffEE6__halfffJPKfEEvPKT0_PKT1_PT2_15HIP_vector_typeIjLj3EESC_SC_jSC_SC_SC_SC_SC_SC_iiiiiiiiiiiDpT3_.numbered_sgpr, 28
	.set _ZL19k_bin_bcast_unravelIXadL_ZL6op_addffEE6__halfffJPKfEEvPKT0_PKT1_PT2_15HIP_vector_typeIjLj3EESC_SC_jSC_SC_SC_SC_SC_SC_iiiiiiiiiiiDpT3_.num_named_barrier, 0
	.set _ZL19k_bin_bcast_unravelIXadL_ZL6op_addffEE6__halfffJPKfEEvPKT0_PKT1_PT2_15HIP_vector_typeIjLj3EESC_SC_jSC_SC_SC_SC_SC_SC_iiiiiiiiiiiDpT3_.private_seg_size, 0
	.set _ZL19k_bin_bcast_unravelIXadL_ZL6op_addffEE6__halfffJPKfEEvPKT0_PKT1_PT2_15HIP_vector_typeIjLj3EESC_SC_jSC_SC_SC_SC_SC_SC_iiiiiiiiiiiDpT3_.uses_vcc, 1
	.set _ZL19k_bin_bcast_unravelIXadL_ZL6op_addffEE6__halfffJPKfEEvPKT0_PKT1_PT2_15HIP_vector_typeIjLj3EESC_SC_jSC_SC_SC_SC_SC_SC_iiiiiiiiiiiDpT3_.uses_flat_scratch, 0
	.set _ZL19k_bin_bcast_unravelIXadL_ZL6op_addffEE6__halfffJPKfEEvPKT0_PKT1_PT2_15HIP_vector_typeIjLj3EESC_SC_jSC_SC_SC_SC_SC_SC_iiiiiiiiiiiDpT3_.has_dyn_sized_stack, 0
	.set _ZL19k_bin_bcast_unravelIXadL_ZL6op_addffEE6__halfffJPKfEEvPKT0_PKT1_PT2_15HIP_vector_typeIjLj3EESC_SC_jSC_SC_SC_SC_SC_SC_iiiiiiiiiiiDpT3_.has_recursion, 0
	.set _ZL19k_bin_bcast_unravelIXadL_ZL6op_addffEE6__halfffJPKfEEvPKT0_PKT1_PT2_15HIP_vector_typeIjLj3EESC_SC_jSC_SC_SC_SC_SC_SC_iiiiiiiiiiiDpT3_.has_indirect_call, 0
	.section	.AMDGPU.csdata,"",@progbits
; Kernel info:
; codeLenInByte = 664
; TotalNumSgprs: 32
; NumVgprs: 11
; ScratchSize: 0
; MemoryBound: 0
; FloatMode: 240
; IeeeMode: 1
; LDSByteSize: 0 bytes/workgroup (compile time only)
; SGPRBlocks: 3
; VGPRBlocks: 2
; NumSGPRsForWavesPerEU: 32
; NumVGPRsForWavesPerEU: 11
; Occupancy: 10
; WaveLimiterHint : 1
; COMPUTE_PGM_RSRC2:SCRATCH_EN: 0
; COMPUTE_PGM_RSRC2:USER_SGPR: 6
; COMPUTE_PGM_RSRC2:TRAP_HANDLER: 0
; COMPUTE_PGM_RSRC2:TGID_X_EN: 1
; COMPUTE_PGM_RSRC2:TGID_Y_EN: 0
; COMPUTE_PGM_RSRC2:TGID_Z_EN: 0
; COMPUTE_PGM_RSRC2:TIDIG_COMP_CNT: 0
	.section	.text._ZL11k_bin_bcastIXadL_ZL6op_addffEE6__halfffJPKfEEvPKT0_PKT1_PT2_iii15HIP_vector_typeIjLj3EESC_SC_SC_SC_iiiiiiiiiiiDpT3_,"axG",@progbits,_ZL11k_bin_bcastIXadL_ZL6op_addffEE6__halfffJPKfEEvPKT0_PKT1_PT2_iii15HIP_vector_typeIjLj3EESC_SC_SC_SC_iiiiiiiiiiiDpT3_,comdat
	.globl	_ZL11k_bin_bcastIXadL_ZL6op_addffEE6__halfffJPKfEEvPKT0_PKT1_PT2_iii15HIP_vector_typeIjLj3EESC_SC_SC_SC_iiiiiiiiiiiDpT3_ ; -- Begin function _ZL11k_bin_bcastIXadL_ZL6op_addffEE6__halfffJPKfEEvPKT0_PKT1_PT2_iii15HIP_vector_typeIjLj3EESC_SC_SC_SC_iiiiiiiiiiiDpT3_
	.p2align	8
	.type	_ZL11k_bin_bcastIXadL_ZL6op_addffEE6__halfffJPKfEEvPKT0_PKT1_PT2_iii15HIP_vector_typeIjLj3EESC_SC_SC_SC_iiiiiiiiiiiDpT3_,@function
_ZL11k_bin_bcastIXadL_ZL6op_addffEE6__halfffJPKfEEvPKT0_PKT1_PT2_iii15HIP_vector_typeIjLj3EESC_SC_SC_SC_iiiiiiiiiiiDpT3_: ; @_ZL11k_bin_bcastIXadL_ZL6op_addffEE6__halfffJPKfEEvPKT0_PKT1_PT2_iii15HIP_vector_typeIjLj3EESC_SC_SC_SC_iiiiiiiiiiiDpT3_
; %bb.0:
	s_load_dwordx2 s[0:1], s[4:5], 0xa4
	s_load_dwordx8 s[12:19], s[4:5], 0x18
	s_add_u32 s2, s4, 0x98
	s_addc_u32 s3, s5, 0
	s_waitcnt lgkmcnt(0)
	s_and_b32 s1, s1, 0xffff
	s_mul_i32 s8, s8, s1
	v_add_u32_e32 v2, s8, v2
	v_mul_hi_u32 v3, v2, s15
	s_lshr_b32 s1, s0, 16
	s_and_b32 s8, s0, 0xffff
	s_mul_i32 s6, s6, s8
	v_add_u32_e32 v3, v2, v3
	v_lshrrev_b32_e32 v7, s16, v3
	v_mul_lo_u32 v4, v7, s17
	s_mul_i32 s7, s7, s1
	v_add_u32_e32 v0, s6, v0
	v_add_u32_e32 v3, s7, v1
	v_cmp_gt_u32_e32 vcc, s12, v0
	v_cmp_gt_u32_e64 s[0:1], s13, v3
	v_sub_u32_e32 v4, v2, v4
	s_and_b64 s[0:1], vcc, s[0:1]
	v_cmp_gt_u32_e32 vcc, s14, v7
	s_and_b64 s[0:1], s[0:1], vcc
	v_cmp_gt_u32_e32 vcc, s17, v4
	s_and_b64 s[0:1], s[0:1], vcc
	s_and_saveexec_b64 s[6:7], s[0:1]
	s_cbranch_execz .LBB15_6
; %bb.1:
	v_cmp_gt_i32_e32 vcc, s12, v0
	s_and_b64 exec, exec, vcc
	s_cbranch_execz .LBB15_6
; %bb.2:
	s_load_dwordx8 s[20:27], s[4:5], 0x60
	s_load_dword s9, s[2:3], 0x0
	s_load_dwordx2 s[6:7], s[4:5], 0x0
	s_load_dwordx8 s[36:43], s[4:5], 0x3c
	s_load_dword s13, s[4:5], 0x38
	s_load_dwordx2 s[10:11], s[4:5], 0x10
	s_nop 0
	s_load_dwordx4 s[0:3], s[4:5], 0x80
	s_load_dwordx2 s[14:15], s[4:5], 0x90
	s_waitcnt lgkmcnt(0)
	v_mul_lo_u32 v8, v4, s22
	v_mul_lo_u32 v9, v7, s21
	;; [unrolled: 1-line block ×4, first 2 shown]
	v_mul_hi_u32 v11, s42, v4
	s_load_dword s3, s[4:5], 0x5c
	v_add3_u32 v8, v9, v10, v8
	v_mul_hi_u32 v10, s39, v7
	v_add_u32_e32 v11, v4, v11
	v_mul_lo_u32 v1, v4, s26
	v_mul_lo_u32 v6, v3, s24
	v_add_u32_e32 v10, v7, v10
	v_lshrrev_b32_e32 v10, s40, v10
	v_mul_lo_u32 v10, v10, s41
	v_lshrrev_b32_e32 v11, s43, v11
	s_waitcnt lgkmcnt(0)
	v_mul_lo_u32 v11, v11, s3
	v_mov_b32_e32 v2, 0
	v_sub_u32_e32 v7, v7, v10
	v_mul_hi_u32 v10, s36, v3
	v_add3_u32 v1, v5, v6, v1
	v_lshlrev_b64 v[5:6], 1, v[1:2]
	v_sub_u32_e32 v4, v4, v11
	v_add_u32_e32 v10, v3, v10
	v_lshrrev_b32_e32 v10, s37, v10
	v_mul_lo_u32 v10, v10, s38
	v_mov_b32_e32 v9, v2
	v_mul_lo_u32 v12, v7, s1
	v_mul_lo_u32 v4, v4, s2
	v_sub_u32_e32 v3, v3, v10
	v_mul_lo_u32 v3, v3, s0
	v_mov_b32_e32 v1, s7
	v_add_co_u32_e32 v5, vcc, s6, v5
	v_lshlrev_b64 v[8:9], 2, v[8:9]
	v_addc_co_u32_e32 v6, vcc, v1, v6, vcc
	v_mov_b32_e32 v1, s11
	v_add_co_u32_e32 v7, vcc, s10, v8
	v_addc_co_u32_e32 v8, vcc, v1, v9, vcc
	v_add3_u32 v1, v12, v4, v3
	v_lshlrev_b64 v[3:4], 2, v[1:2]
	s_cmp_lg_u64 s[6:7], 0
	v_add_co_u32_e32 v9, vcc, s14, v3
	v_mul_lo_u32 v3, s23, v0
	s_cselect_b64 s[0:1], -1, 0
	v_mov_b32_e32 v1, s15
	v_addc_co_u32_e32 v10, vcc, v1, v4, vcc
	s_mul_i32 s6, s9, s8
	v_cndmask_b32_e64 v1, 0, 1, s[0:1]
	s_mov_b64 s[4:5], 0
	s_mul_i32 s7, s6, s23
	s_sub_i32 s8, 0, s13
	v_cmp_ne_u32_e64 s[0:1], 1, v1
	s_branch .LBB15_4
.LBB15_3:                               ;   in Loop: Header=BB15_4 Depth=1
	v_mul_hi_u32 v1, s18, v0
	v_add_u32_e32 v3, s7, v3
	v_add_u32_e32 v1, v0, v1
	v_lshrrev_b32_e32 v1, s19, v1
	v_mad_u64_u32 v[11:12], s[2:3], s8, v1, v[0:1]
	v_mul_lo_u32 v1, v11, s27
	v_lshlrev_b64 v[11:12], 2, v[1:2]
	v_ashrrev_i32_e32 v1, 31, v0
	v_add_co_u32_e32 v11, vcc, v9, v11
	v_addc_co_u32_e32 v12, vcc, v10, v12, vcc
	global_load_dword v13, v[11:12], off
	v_lshlrev_b64 v[11:12], 2, v[0:1]
	v_add_u32_e32 v0, s6, v0
	v_cmp_le_i32_e32 vcc, s12, v0
	v_add_co_u32_e64 v11, s[2:3], v7, v11
	v_addc_co_u32_e64 v12, s[2:3], v8, v12, s[2:3]
	s_or_b64 s[4:5], vcc, s[4:5]
	s_waitcnt vmcnt(0)
	v_add_f32_e32 v1, v4, v13
	global_store_dword v[11:12], v1, off
	s_andn2_b64 exec, exec, s[4:5]
	s_cbranch_execz .LBB15_6
.LBB15_4:                               ; =>This Inner Loop Header: Depth=1
	s_and_b64 vcc, exec, s[0:1]
	v_mov_b32_e32 v4, 0
	s_cbranch_vccnz .LBB15_3
; %bb.5:                                ;   in Loop: Header=BB15_4 Depth=1
	v_ashrrev_i32_e32 v4, 31, v3
	v_lshlrev_b64 v[11:12], 1, v[3:4]
	v_add_co_u32_e32 v11, vcc, v5, v11
	v_addc_co_u32_e32 v12, vcc, v6, v12, vcc
	global_load_ushort v1, v[11:12], off
	s_waitcnt vmcnt(0)
	v_cvt_f32_f16_e32 v4, v1
	s_branch .LBB15_3
.LBB15_6:
	s_endpgm
	.section	.rodata,"a",@progbits
	.p2align	6, 0x0
	.amdhsa_kernel _ZL11k_bin_bcastIXadL_ZL6op_addffEE6__halfffJPKfEEvPKT0_PKT1_PT2_iii15HIP_vector_typeIjLj3EESC_SC_SC_SC_iiiiiiiiiiiDpT3_
		.amdhsa_group_segment_fixed_size 0
		.amdhsa_private_segment_fixed_size 0
		.amdhsa_kernarg_size 408
		.amdhsa_user_sgpr_count 6
		.amdhsa_user_sgpr_private_segment_buffer 1
		.amdhsa_user_sgpr_dispatch_ptr 0
		.amdhsa_user_sgpr_queue_ptr 0
		.amdhsa_user_sgpr_kernarg_segment_ptr 1
		.amdhsa_user_sgpr_dispatch_id 0
		.amdhsa_user_sgpr_flat_scratch_init 0
		.amdhsa_user_sgpr_private_segment_size 0
		.amdhsa_uses_dynamic_stack 0
		.amdhsa_system_sgpr_private_segment_wavefront_offset 0
		.amdhsa_system_sgpr_workgroup_id_x 1
		.amdhsa_system_sgpr_workgroup_id_y 1
		.amdhsa_system_sgpr_workgroup_id_z 1
		.amdhsa_system_sgpr_workgroup_info 0
		.amdhsa_system_vgpr_workitem_id 2
		.amdhsa_next_free_vgpr 14
		.amdhsa_next_free_sgpr 44
		.amdhsa_reserve_vcc 1
		.amdhsa_reserve_flat_scratch 0
		.amdhsa_float_round_mode_32 0
		.amdhsa_float_round_mode_16_64 0
		.amdhsa_float_denorm_mode_32 3
		.amdhsa_float_denorm_mode_16_64 3
		.amdhsa_dx10_clamp 1
		.amdhsa_ieee_mode 1
		.amdhsa_fp16_overflow 0
		.amdhsa_exception_fp_ieee_invalid_op 0
		.amdhsa_exception_fp_denorm_src 0
		.amdhsa_exception_fp_ieee_div_zero 0
		.amdhsa_exception_fp_ieee_overflow 0
		.amdhsa_exception_fp_ieee_underflow 0
		.amdhsa_exception_fp_ieee_inexact 0
		.amdhsa_exception_int_div_zero 0
	.end_amdhsa_kernel
	.section	.text._ZL11k_bin_bcastIXadL_ZL6op_addffEE6__halfffJPKfEEvPKT0_PKT1_PT2_iii15HIP_vector_typeIjLj3EESC_SC_SC_SC_iiiiiiiiiiiDpT3_,"axG",@progbits,_ZL11k_bin_bcastIXadL_ZL6op_addffEE6__halfffJPKfEEvPKT0_PKT1_PT2_iii15HIP_vector_typeIjLj3EESC_SC_SC_SC_iiiiiiiiiiiDpT3_,comdat
.Lfunc_end15:
	.size	_ZL11k_bin_bcastIXadL_ZL6op_addffEE6__halfffJPKfEEvPKT0_PKT1_PT2_iii15HIP_vector_typeIjLj3EESC_SC_SC_SC_iiiiiiiiiiiDpT3_, .Lfunc_end15-_ZL11k_bin_bcastIXadL_ZL6op_addffEE6__halfffJPKfEEvPKT0_PKT1_PT2_iii15HIP_vector_typeIjLj3EESC_SC_SC_SC_iiiiiiiiiiiDpT3_
                                        ; -- End function
	.set _ZL11k_bin_bcastIXadL_ZL6op_addffEE6__halfffJPKfEEvPKT0_PKT1_PT2_iii15HIP_vector_typeIjLj3EESC_SC_SC_SC_iiiiiiiiiiiDpT3_.num_vgpr, 14
	.set _ZL11k_bin_bcastIXadL_ZL6op_addffEE6__halfffJPKfEEvPKT0_PKT1_PT2_iii15HIP_vector_typeIjLj3EESC_SC_SC_SC_iiiiiiiiiiiDpT3_.num_agpr, 0
	.set _ZL11k_bin_bcastIXadL_ZL6op_addffEE6__halfffJPKfEEvPKT0_PKT1_PT2_iii15HIP_vector_typeIjLj3EESC_SC_SC_SC_iiiiiiiiiiiDpT3_.numbered_sgpr, 44
	.set _ZL11k_bin_bcastIXadL_ZL6op_addffEE6__halfffJPKfEEvPKT0_PKT1_PT2_iii15HIP_vector_typeIjLj3EESC_SC_SC_SC_iiiiiiiiiiiDpT3_.num_named_barrier, 0
	.set _ZL11k_bin_bcastIXadL_ZL6op_addffEE6__halfffJPKfEEvPKT0_PKT1_PT2_iii15HIP_vector_typeIjLj3EESC_SC_SC_SC_iiiiiiiiiiiDpT3_.private_seg_size, 0
	.set _ZL11k_bin_bcastIXadL_ZL6op_addffEE6__halfffJPKfEEvPKT0_PKT1_PT2_iii15HIP_vector_typeIjLj3EESC_SC_SC_SC_iiiiiiiiiiiDpT3_.uses_vcc, 1
	.set _ZL11k_bin_bcastIXadL_ZL6op_addffEE6__halfffJPKfEEvPKT0_PKT1_PT2_iii15HIP_vector_typeIjLj3EESC_SC_SC_SC_iiiiiiiiiiiDpT3_.uses_flat_scratch, 0
	.set _ZL11k_bin_bcastIXadL_ZL6op_addffEE6__halfffJPKfEEvPKT0_PKT1_PT2_iii15HIP_vector_typeIjLj3EESC_SC_SC_SC_iiiiiiiiiiiDpT3_.has_dyn_sized_stack, 0
	.set _ZL11k_bin_bcastIXadL_ZL6op_addffEE6__halfffJPKfEEvPKT0_PKT1_PT2_iii15HIP_vector_typeIjLj3EESC_SC_SC_SC_iiiiiiiiiiiDpT3_.has_recursion, 0
	.set _ZL11k_bin_bcastIXadL_ZL6op_addffEE6__halfffJPKfEEvPKT0_PKT1_PT2_iii15HIP_vector_typeIjLj3EESC_SC_SC_SC_iiiiiiiiiiiDpT3_.has_indirect_call, 0
	.section	.AMDGPU.csdata,"",@progbits
; Kernel info:
; codeLenInByte = 720
; TotalNumSgprs: 48
; NumVgprs: 14
; ScratchSize: 0
; MemoryBound: 0
; FloatMode: 240
; IeeeMode: 1
; LDSByteSize: 0 bytes/workgroup (compile time only)
; SGPRBlocks: 5
; VGPRBlocks: 3
; NumSGPRsForWavesPerEU: 48
; NumVGPRsForWavesPerEU: 14
; Occupancy: 10
; WaveLimiterHint : 1
; COMPUTE_PGM_RSRC2:SCRATCH_EN: 0
; COMPUTE_PGM_RSRC2:USER_SGPR: 6
; COMPUTE_PGM_RSRC2:TRAP_HANDLER: 0
; COMPUTE_PGM_RSRC2:TGID_X_EN: 1
; COMPUTE_PGM_RSRC2:TGID_Y_EN: 1
; COMPUTE_PGM_RSRC2:TGID_Z_EN: 1
; COMPUTE_PGM_RSRC2:TIDIG_COMP_CNT: 2
	.section	.text._ZL19k_bin_bcast_unravelIXadL_ZL6op_subffEEfffJPKfEEvPKT0_PKT1_PT2_15HIP_vector_typeIjLj3EESB_SB_jSB_SB_SB_SB_SB_SB_iiiiiiiiiiiDpT3_,"axG",@progbits,_ZL19k_bin_bcast_unravelIXadL_ZL6op_subffEEfffJPKfEEvPKT0_PKT1_PT2_15HIP_vector_typeIjLj3EESB_SB_jSB_SB_SB_SB_SB_SB_iiiiiiiiiiiDpT3_,comdat
	.globl	_ZL19k_bin_bcast_unravelIXadL_ZL6op_subffEEfffJPKfEEvPKT0_PKT1_PT2_15HIP_vector_typeIjLj3EESB_SB_jSB_SB_SB_SB_SB_SB_iiiiiiiiiiiDpT3_ ; -- Begin function _ZL19k_bin_bcast_unravelIXadL_ZL6op_subffEEfffJPKfEEvPKT0_PKT1_PT2_15HIP_vector_typeIjLj3EESB_SB_jSB_SB_SB_SB_SB_SB_iiiiiiiiiiiDpT3_
	.p2align	8
	.type	_ZL19k_bin_bcast_unravelIXadL_ZL6op_subffEEfffJPKfEEvPKT0_PKT1_PT2_15HIP_vector_typeIjLj3EESB_SB_jSB_SB_SB_SB_SB_SB_iiiiiiiiiiiDpT3_,@function
_ZL19k_bin_bcast_unravelIXadL_ZL6op_subffEEfffJPKfEEvPKT0_PKT1_PT2_15HIP_vector_typeIjLj3EESB_SB_jSB_SB_SB_SB_SB_SB_iiiiiiiiiiiDpT3_: ; @_ZL19k_bin_bcast_unravelIXadL_ZL6op_subffEEfffJPKfEEvPKT0_PKT1_PT2_15HIP_vector_typeIjLj3EESB_SB_jSB_SB_SB_SB_SB_SB_iiiiiiiiiiiDpT3_
; %bb.0:
	s_load_dword s0, s[4:5], 0xcc
	s_load_dwordx8 s[8:15], s[4:5], 0x38
	s_waitcnt lgkmcnt(0)
	s_and_b32 s0, s0, 0xffff
	s_mul_i32 s6, s6, s0
	v_add_u32_e32 v0, s6, v0
	v_mul_hi_u32 v1, v0, s10
	s_load_dwordx4 s[0:3], s[4:5], 0x18
	s_waitcnt lgkmcnt(0)
	s_load_dword s3, s[4:5], 0x2c
	v_add_u32_e32 v1, v0, v1
	v_lshrrev_b32_e32 v1, s11, v1
	v_mul_lo_u32 v2, v1, s12
	v_sub_u32_e32 v0, v0, v2
	v_mul_hi_u32 v2, v0, s13
	v_add_u32_e32 v2, v0, v2
	v_lshrrev_b32_e32 v3, s14, v2
	v_mul_lo_u32 v2, v3, s15
	v_cmp_gt_u32_e32 vcc, s8, v3
	v_sub_u32_e32 v0, v0, v2
	v_mul_hi_u32 v2, v0, s0
	v_add_u32_e32 v2, v0, v2
	v_lshrrev_b32_e32 v4, s1, v2
	v_mul_lo_u32 v2, v4, s2
	s_waitcnt lgkmcnt(0)
	v_cmp_gt_u32_e64 s[0:1], s3, v4
	v_sub_u32_e32 v0, v0, v2
	v_cmp_gt_u32_e64 s[2:3], s2, v0
	s_and_b64 s[0:1], s[2:3], s[0:1]
	s_and_b64 s[0:1], s[0:1], vcc
	v_cmp_gt_u32_e32 vcc, s9, v1
	s_and_b64 s[0:1], vcc, s[0:1]
	s_and_saveexec_b64 s[2:3], s[0:1]
	s_cbranch_execz .LBB16_4
; %bb.1:
	s_load_dwordx2 s[6:7], s[4:5], 0x0
	s_load_dwordx4 s[0:3], s[4:5], 0xa8
	s_load_dwordx8 s[8:15], s[4:5], 0x88
	s_load_dwordx4 s[24:27], s[4:5], 0x78
	s_load_dwordx8 s[16:23], s[4:5], 0x58
	v_mov_b32_e32 v2, 0
	s_waitcnt lgkmcnt(0)
	s_cmp_eq_u64 s[6:7], 0
	v_mov_b32_e32 v5, 0
	s_cbranch_scc1 .LBB16_3
; %bb.2:
	v_mul_lo_u32 v5, v1, s14
	v_mul_lo_u32 v7, v3, s13
	;; [unrolled: 1-line block ×3, first 2 shown]
	v_mov_b32_e32 v6, 0
	v_mov_b32_e32 v9, s7
	v_add3_u32 v5, v7, v5, v8
	v_lshlrev_b64 v[7:8], 2, v[5:6]
	v_mul_lo_u32 v5, v0, s11
	v_add_co_u32_e32 v7, vcc, s6, v7
	v_addc_co_u32_e32 v8, vcc, v9, v8, vcc
	v_lshlrev_b64 v[5:6], 2, v[5:6]
	v_add_co_u32_e32 v5, vcc, v7, v5
	v_addc_co_u32_e32 v6, vcc, v8, v6, vcc
	global_load_dword v5, v[5:6], off
.LBB16_3:
	v_mul_hi_u32 v6, s19, v4
	v_mul_hi_u32 v7, s22, v3
	;; [unrolled: 1-line block ×4, first 2 shown]
	v_add_u32_e32 v6, v4, v6
	v_add_u32_e32 v7, v3, v7
	;; [unrolled: 1-line block ×3, first 2 shown]
	v_lshrrev_b32_e32 v6, s20, v6
	v_lshrrev_b32_e32 v7, s23, v7
	v_lshrrev_b32_e32 v8, s26, v8
	v_mul_lo_u32 v6, v6, s21
	v_mul_lo_u32 v7, v7, s24
	;; [unrolled: 1-line block ×3, first 2 shown]
	v_add_u32_e32 v9, v0, v9
	v_lshrrev_b32_e32 v9, s17, v9
	v_mul_lo_u32 v9, v9, s18
	v_sub_u32_e32 v6, v4, v6
	v_sub_u32_e32 v7, v3, v7
	;; [unrolled: 1-line block ×3, first 2 shown]
	v_mul_lo_u32 v8, v8, s2
	v_mul_lo_u32 v7, v7, s1
	;; [unrolled: 1-line block ×3, first 2 shown]
	v_sub_u32_e32 v6, v0, v9
	v_mul_lo_u32 v6, v6, s15
	s_load_dwordx2 s[0:1], s[4:5], 0xb8
	v_add3_u32 v8, v7, v8, v10
	v_ashrrev_i32_e32 v9, 31, v8
	v_lshlrev_b64 v[8:9], 2, v[8:9]
	v_ashrrev_i32_e32 v7, 31, v6
	s_waitcnt lgkmcnt(0)
	v_mov_b32_e32 v10, s1
	v_add_co_u32_e32 v8, vcc, s0, v8
	v_lshlrev_b64 v[6:7], 2, v[6:7]
	v_addc_co_u32_e32 v9, vcc, v10, v9, vcc
	v_add_co_u32_e32 v6, vcc, v8, v6
	v_addc_co_u32_e32 v7, vcc, v9, v7, vcc
	global_load_dword v6, v[6:7], off
	v_mul_lo_u32 v7, v1, s10
	v_mul_lo_u32 v8, v3, s9
	;; [unrolled: 1-line block ×3, first 2 shown]
	s_load_dwordx2 s[0:1], s[4:5], 0x10
	v_mov_b32_e32 v1, v2
	v_lshlrev_b64 v[3:4], 2, v[0:1]
	v_add3_u32 v1, v8, v7, v9
	v_lshlrev_b64 v[0:1], 2, v[1:2]
	s_waitcnt lgkmcnt(0)
	v_mov_b32_e32 v2, s1
	v_add_co_u32_e32 v0, vcc, s0, v0
	v_addc_co_u32_e32 v1, vcc, v2, v1, vcc
	v_add_co_u32_e32 v0, vcc, v0, v3
	v_addc_co_u32_e32 v1, vcc, v1, v4, vcc
	s_waitcnt vmcnt(0)
	v_sub_f32_e32 v2, v5, v6
	global_store_dword v[0:1], v2, off
.LBB16_4:
	s_endpgm
	.section	.rodata,"a",@progbits
	.p2align	6, 0x0
	.amdhsa_kernel _ZL19k_bin_bcast_unravelIXadL_ZL6op_subffEEfffJPKfEEvPKT0_PKT1_PT2_15HIP_vector_typeIjLj3EESB_SB_jSB_SB_SB_SB_SB_SB_iiiiiiiiiiiDpT3_
		.amdhsa_group_segment_fixed_size 0
		.amdhsa_private_segment_fixed_size 0
		.amdhsa_kernarg_size 448
		.amdhsa_user_sgpr_count 6
		.amdhsa_user_sgpr_private_segment_buffer 1
		.amdhsa_user_sgpr_dispatch_ptr 0
		.amdhsa_user_sgpr_queue_ptr 0
		.amdhsa_user_sgpr_kernarg_segment_ptr 1
		.amdhsa_user_sgpr_dispatch_id 0
		.amdhsa_user_sgpr_flat_scratch_init 0
		.amdhsa_user_sgpr_private_segment_size 0
		.amdhsa_uses_dynamic_stack 0
		.amdhsa_system_sgpr_private_segment_wavefront_offset 0
		.amdhsa_system_sgpr_workgroup_id_x 1
		.amdhsa_system_sgpr_workgroup_id_y 0
		.amdhsa_system_sgpr_workgroup_id_z 0
		.amdhsa_system_sgpr_workgroup_info 0
		.amdhsa_system_vgpr_workitem_id 0
		.amdhsa_next_free_vgpr 11
		.amdhsa_next_free_sgpr 28
		.amdhsa_reserve_vcc 1
		.amdhsa_reserve_flat_scratch 0
		.amdhsa_float_round_mode_32 0
		.amdhsa_float_round_mode_16_64 0
		.amdhsa_float_denorm_mode_32 3
		.amdhsa_float_denorm_mode_16_64 3
		.amdhsa_dx10_clamp 1
		.amdhsa_ieee_mode 1
		.amdhsa_fp16_overflow 0
		.amdhsa_exception_fp_ieee_invalid_op 0
		.amdhsa_exception_fp_denorm_src 0
		.amdhsa_exception_fp_ieee_div_zero 0
		.amdhsa_exception_fp_ieee_overflow 0
		.amdhsa_exception_fp_ieee_underflow 0
		.amdhsa_exception_fp_ieee_inexact 0
		.amdhsa_exception_int_div_zero 0
	.end_amdhsa_kernel
	.section	.text._ZL19k_bin_bcast_unravelIXadL_ZL6op_subffEEfffJPKfEEvPKT0_PKT1_PT2_15HIP_vector_typeIjLj3EESB_SB_jSB_SB_SB_SB_SB_SB_iiiiiiiiiiiDpT3_,"axG",@progbits,_ZL19k_bin_bcast_unravelIXadL_ZL6op_subffEEfffJPKfEEvPKT0_PKT1_PT2_15HIP_vector_typeIjLj3EESB_SB_jSB_SB_SB_SB_SB_SB_iiiiiiiiiiiDpT3_,comdat
.Lfunc_end16:
	.size	_ZL19k_bin_bcast_unravelIXadL_ZL6op_subffEEfffJPKfEEvPKT0_PKT1_PT2_15HIP_vector_typeIjLj3EESB_SB_jSB_SB_SB_SB_SB_SB_iiiiiiiiiiiDpT3_, .Lfunc_end16-_ZL19k_bin_bcast_unravelIXadL_ZL6op_subffEEfffJPKfEEvPKT0_PKT1_PT2_15HIP_vector_typeIjLj3EESB_SB_jSB_SB_SB_SB_SB_SB_iiiiiiiiiiiDpT3_
                                        ; -- End function
	.set _ZL19k_bin_bcast_unravelIXadL_ZL6op_subffEEfffJPKfEEvPKT0_PKT1_PT2_15HIP_vector_typeIjLj3EESB_SB_jSB_SB_SB_SB_SB_SB_iiiiiiiiiiiDpT3_.num_vgpr, 11
	.set _ZL19k_bin_bcast_unravelIXadL_ZL6op_subffEEfffJPKfEEvPKT0_PKT1_PT2_15HIP_vector_typeIjLj3EESB_SB_jSB_SB_SB_SB_SB_SB_iiiiiiiiiiiDpT3_.num_agpr, 0
	.set _ZL19k_bin_bcast_unravelIXadL_ZL6op_subffEEfffJPKfEEvPKT0_PKT1_PT2_15HIP_vector_typeIjLj3EESB_SB_jSB_SB_SB_SB_SB_SB_iiiiiiiiiiiDpT3_.numbered_sgpr, 28
	.set _ZL19k_bin_bcast_unravelIXadL_ZL6op_subffEEfffJPKfEEvPKT0_PKT1_PT2_15HIP_vector_typeIjLj3EESB_SB_jSB_SB_SB_SB_SB_SB_iiiiiiiiiiiDpT3_.num_named_barrier, 0
	.set _ZL19k_bin_bcast_unravelIXadL_ZL6op_subffEEfffJPKfEEvPKT0_PKT1_PT2_15HIP_vector_typeIjLj3EESB_SB_jSB_SB_SB_SB_SB_SB_iiiiiiiiiiiDpT3_.private_seg_size, 0
	.set _ZL19k_bin_bcast_unravelIXadL_ZL6op_subffEEfffJPKfEEvPKT0_PKT1_PT2_15HIP_vector_typeIjLj3EESB_SB_jSB_SB_SB_SB_SB_SB_iiiiiiiiiiiDpT3_.uses_vcc, 1
	.set _ZL19k_bin_bcast_unravelIXadL_ZL6op_subffEEfffJPKfEEvPKT0_PKT1_PT2_15HIP_vector_typeIjLj3EESB_SB_jSB_SB_SB_SB_SB_SB_iiiiiiiiiiiDpT3_.uses_flat_scratch, 0
	.set _ZL19k_bin_bcast_unravelIXadL_ZL6op_subffEEfffJPKfEEvPKT0_PKT1_PT2_15HIP_vector_typeIjLj3EESB_SB_jSB_SB_SB_SB_SB_SB_iiiiiiiiiiiDpT3_.has_dyn_sized_stack, 0
	.set _ZL19k_bin_bcast_unravelIXadL_ZL6op_subffEEfffJPKfEEvPKT0_PKT1_PT2_15HIP_vector_typeIjLj3EESB_SB_jSB_SB_SB_SB_SB_SB_iiiiiiiiiiiDpT3_.has_recursion, 0
	.set _ZL19k_bin_bcast_unravelIXadL_ZL6op_subffEEfffJPKfEEvPKT0_PKT1_PT2_15HIP_vector_typeIjLj3EESB_SB_jSB_SB_SB_SB_SB_SB_iiiiiiiiiiiDpT3_.has_indirect_call, 0
	.section	.AMDGPU.csdata,"",@progbits
; Kernel info:
; codeLenInByte = 656
; TotalNumSgprs: 32
; NumVgprs: 11
; ScratchSize: 0
; MemoryBound: 0
; FloatMode: 240
; IeeeMode: 1
; LDSByteSize: 0 bytes/workgroup (compile time only)
; SGPRBlocks: 3
; VGPRBlocks: 2
; NumSGPRsForWavesPerEU: 32
; NumVGPRsForWavesPerEU: 11
; Occupancy: 10
; WaveLimiterHint : 1
; COMPUTE_PGM_RSRC2:SCRATCH_EN: 0
; COMPUTE_PGM_RSRC2:USER_SGPR: 6
; COMPUTE_PGM_RSRC2:TRAP_HANDLER: 0
; COMPUTE_PGM_RSRC2:TGID_X_EN: 1
; COMPUTE_PGM_RSRC2:TGID_Y_EN: 0
; COMPUTE_PGM_RSRC2:TGID_Z_EN: 0
; COMPUTE_PGM_RSRC2:TIDIG_COMP_CNT: 0
	.section	.text._ZL11k_bin_bcastIXadL_ZL6op_subffEEfffJPKfEEvPKT0_PKT1_PT2_iii15HIP_vector_typeIjLj3EESB_SB_SB_SB_iiiiiiiiiiiDpT3_,"axG",@progbits,_ZL11k_bin_bcastIXadL_ZL6op_subffEEfffJPKfEEvPKT0_PKT1_PT2_iii15HIP_vector_typeIjLj3EESB_SB_SB_SB_iiiiiiiiiiiDpT3_,comdat
	.globl	_ZL11k_bin_bcastIXadL_ZL6op_subffEEfffJPKfEEvPKT0_PKT1_PT2_iii15HIP_vector_typeIjLj3EESB_SB_SB_SB_iiiiiiiiiiiDpT3_ ; -- Begin function _ZL11k_bin_bcastIXadL_ZL6op_subffEEfffJPKfEEvPKT0_PKT1_PT2_iii15HIP_vector_typeIjLj3EESB_SB_SB_SB_iiiiiiiiiiiDpT3_
	.p2align	8
	.type	_ZL11k_bin_bcastIXadL_ZL6op_subffEEfffJPKfEEvPKT0_PKT1_PT2_iii15HIP_vector_typeIjLj3EESB_SB_SB_SB_iiiiiiiiiiiDpT3_,@function
_ZL11k_bin_bcastIXadL_ZL6op_subffEEfffJPKfEEvPKT0_PKT1_PT2_iii15HIP_vector_typeIjLj3EESB_SB_SB_SB_iiiiiiiiiiiDpT3_: ; @_ZL11k_bin_bcastIXadL_ZL6op_subffEEfffJPKfEEvPKT0_PKT1_PT2_iii15HIP_vector_typeIjLj3EESB_SB_SB_SB_iiiiiiiiiiiDpT3_
; %bb.0:
	s_load_dwordx2 s[0:1], s[4:5], 0xa4
	s_load_dwordx8 s[12:19], s[4:5], 0x18
	s_add_u32 s2, s4, 0x98
	s_addc_u32 s3, s5, 0
	s_waitcnt lgkmcnt(0)
	s_and_b32 s1, s1, 0xffff
	s_mul_i32 s8, s8, s1
	v_add_u32_e32 v2, s8, v2
	v_mul_hi_u32 v3, v2, s15
	s_lshr_b32 s1, s0, 16
	s_and_b32 s8, s0, 0xffff
	s_mul_i32 s6, s6, s8
	v_add_u32_e32 v3, v2, v3
	v_lshrrev_b32_e32 v7, s16, v3
	v_mul_lo_u32 v4, v7, s17
	s_mul_i32 s7, s7, s1
	v_add_u32_e32 v0, s6, v0
	v_add_u32_e32 v3, s7, v1
	v_cmp_gt_u32_e32 vcc, s12, v0
	v_cmp_gt_u32_e64 s[0:1], s13, v3
	v_sub_u32_e32 v4, v2, v4
	s_and_b64 s[0:1], vcc, s[0:1]
	v_cmp_gt_u32_e32 vcc, s14, v7
	s_and_b64 s[0:1], s[0:1], vcc
	v_cmp_gt_u32_e32 vcc, s17, v4
	s_and_b64 s[0:1], s[0:1], vcc
	s_and_saveexec_b64 s[6:7], s[0:1]
	s_cbranch_execz .LBB17_6
; %bb.1:
	v_cmp_gt_i32_e32 vcc, s12, v0
	s_and_b64 exec, exec, vcc
	s_cbranch_execz .LBB17_6
; %bb.2:
	s_load_dwordx8 s[20:27], s[4:5], 0x60
	s_load_dword s9, s[2:3], 0x0
	s_load_dwordx2 s[6:7], s[4:5], 0x0
	s_load_dwordx8 s[36:43], s[4:5], 0x3c
	s_load_dword s13, s[4:5], 0x38
	s_load_dwordx2 s[10:11], s[4:5], 0x10
	s_nop 0
	s_load_dwordx4 s[0:3], s[4:5], 0x80
	s_load_dwordx2 s[14:15], s[4:5], 0x90
	s_waitcnt lgkmcnt(0)
	v_mul_lo_u32 v8, v4, s22
	v_mul_lo_u32 v9, v7, s21
	;; [unrolled: 1-line block ×4, first 2 shown]
	v_mul_hi_u32 v11, s42, v4
	s_load_dword s3, s[4:5], 0x5c
	v_add3_u32 v8, v9, v10, v8
	v_mul_hi_u32 v10, s39, v7
	v_add_u32_e32 v11, v4, v11
	v_mul_lo_u32 v1, v4, s26
	v_mul_lo_u32 v6, v3, s24
	v_add_u32_e32 v10, v7, v10
	v_lshrrev_b32_e32 v10, s40, v10
	v_mul_lo_u32 v10, v10, s41
	v_lshrrev_b32_e32 v11, s43, v11
	s_waitcnt lgkmcnt(0)
	v_mul_lo_u32 v11, v11, s3
	v_mov_b32_e32 v2, 0
	v_sub_u32_e32 v7, v7, v10
	v_mul_hi_u32 v10, s36, v3
	v_add3_u32 v1, v5, v6, v1
	v_lshlrev_b64 v[5:6], 2, v[1:2]
	v_sub_u32_e32 v4, v4, v11
	v_add_u32_e32 v10, v3, v10
	v_lshrrev_b32_e32 v10, s37, v10
	v_mul_lo_u32 v10, v10, s38
	v_mov_b32_e32 v9, v2
	v_mul_lo_u32 v12, v7, s1
	v_mul_lo_u32 v4, v4, s2
	v_sub_u32_e32 v3, v3, v10
	v_mul_lo_u32 v3, v3, s0
	v_mov_b32_e32 v1, s7
	v_add_co_u32_e32 v5, vcc, s6, v5
	v_lshlrev_b64 v[8:9], 2, v[8:9]
	v_addc_co_u32_e32 v6, vcc, v1, v6, vcc
	v_mov_b32_e32 v1, s11
	v_add_co_u32_e32 v7, vcc, s10, v8
	v_addc_co_u32_e32 v8, vcc, v1, v9, vcc
	v_add3_u32 v1, v12, v4, v3
	v_lshlrev_b64 v[3:4], 2, v[1:2]
	s_cmp_lg_u64 s[6:7], 0
	v_add_co_u32_e32 v9, vcc, s14, v3
	v_mul_lo_u32 v3, s23, v0
	s_cselect_b64 s[0:1], -1, 0
	v_mov_b32_e32 v1, s15
	v_addc_co_u32_e32 v10, vcc, v1, v4, vcc
	s_mul_i32 s6, s9, s8
	v_cndmask_b32_e64 v1, 0, 1, s[0:1]
	s_mov_b64 s[4:5], 0
	s_mul_i32 s7, s6, s23
	s_sub_i32 s8, 0, s13
	v_cmp_ne_u32_e64 s[0:1], 1, v1
	s_branch .LBB17_4
.LBB17_3:                               ;   in Loop: Header=BB17_4 Depth=1
	v_mul_hi_u32 v1, s18, v0
	v_add_u32_e32 v3, s7, v3
	v_add_u32_e32 v1, v0, v1
	v_lshrrev_b32_e32 v1, s19, v1
	v_mad_u64_u32 v[11:12], s[2:3], s8, v1, v[0:1]
	v_mul_lo_u32 v1, v11, s27
	v_lshlrev_b64 v[11:12], 2, v[1:2]
	v_ashrrev_i32_e32 v1, 31, v0
	v_add_co_u32_e32 v11, vcc, v9, v11
	v_addc_co_u32_e32 v12, vcc, v10, v12, vcc
	global_load_dword v13, v[11:12], off
	v_lshlrev_b64 v[11:12], 2, v[0:1]
	v_add_u32_e32 v0, s6, v0
	v_cmp_le_i32_e32 vcc, s12, v0
	v_add_co_u32_e64 v11, s[2:3], v7, v11
	v_addc_co_u32_e64 v12, s[2:3], v8, v12, s[2:3]
	s_or_b64 s[4:5], vcc, s[4:5]
	s_waitcnt vmcnt(0)
	v_sub_f32_e32 v1, v4, v13
	global_store_dword v[11:12], v1, off
	s_andn2_b64 exec, exec, s[4:5]
	s_cbranch_execz .LBB17_6
.LBB17_4:                               ; =>This Inner Loop Header: Depth=1
	s_and_b64 vcc, exec, s[0:1]
	v_mov_b32_e32 v4, 0
	s_cbranch_vccnz .LBB17_3
; %bb.5:                                ;   in Loop: Header=BB17_4 Depth=1
	v_ashrrev_i32_e32 v4, 31, v3
	v_lshlrev_b64 v[11:12], 2, v[3:4]
	v_add_co_u32_e32 v11, vcc, v5, v11
	v_addc_co_u32_e32 v12, vcc, v6, v12, vcc
	global_load_dword v4, v[11:12], off
	s_branch .LBB17_3
.LBB17_6:
	s_endpgm
	.section	.rodata,"a",@progbits
	.p2align	6, 0x0
	.amdhsa_kernel _ZL11k_bin_bcastIXadL_ZL6op_subffEEfffJPKfEEvPKT0_PKT1_PT2_iii15HIP_vector_typeIjLj3EESB_SB_SB_SB_iiiiiiiiiiiDpT3_
		.amdhsa_group_segment_fixed_size 0
		.amdhsa_private_segment_fixed_size 0
		.amdhsa_kernarg_size 408
		.amdhsa_user_sgpr_count 6
		.amdhsa_user_sgpr_private_segment_buffer 1
		.amdhsa_user_sgpr_dispatch_ptr 0
		.amdhsa_user_sgpr_queue_ptr 0
		.amdhsa_user_sgpr_kernarg_segment_ptr 1
		.amdhsa_user_sgpr_dispatch_id 0
		.amdhsa_user_sgpr_flat_scratch_init 0
		.amdhsa_user_sgpr_private_segment_size 0
		.amdhsa_uses_dynamic_stack 0
		.amdhsa_system_sgpr_private_segment_wavefront_offset 0
		.amdhsa_system_sgpr_workgroup_id_x 1
		.amdhsa_system_sgpr_workgroup_id_y 1
		.amdhsa_system_sgpr_workgroup_id_z 1
		.amdhsa_system_sgpr_workgroup_info 0
		.amdhsa_system_vgpr_workitem_id 2
		.amdhsa_next_free_vgpr 14
		.amdhsa_next_free_sgpr 44
		.amdhsa_reserve_vcc 1
		.amdhsa_reserve_flat_scratch 0
		.amdhsa_float_round_mode_32 0
		.amdhsa_float_round_mode_16_64 0
		.amdhsa_float_denorm_mode_32 3
		.amdhsa_float_denorm_mode_16_64 3
		.amdhsa_dx10_clamp 1
		.amdhsa_ieee_mode 1
		.amdhsa_fp16_overflow 0
		.amdhsa_exception_fp_ieee_invalid_op 0
		.amdhsa_exception_fp_denorm_src 0
		.amdhsa_exception_fp_ieee_div_zero 0
		.amdhsa_exception_fp_ieee_overflow 0
		.amdhsa_exception_fp_ieee_underflow 0
		.amdhsa_exception_fp_ieee_inexact 0
		.amdhsa_exception_int_div_zero 0
	.end_amdhsa_kernel
	.section	.text._ZL11k_bin_bcastIXadL_ZL6op_subffEEfffJPKfEEvPKT0_PKT1_PT2_iii15HIP_vector_typeIjLj3EESB_SB_SB_SB_iiiiiiiiiiiDpT3_,"axG",@progbits,_ZL11k_bin_bcastIXadL_ZL6op_subffEEfffJPKfEEvPKT0_PKT1_PT2_iii15HIP_vector_typeIjLj3EESB_SB_SB_SB_iiiiiiiiiiiDpT3_,comdat
.Lfunc_end17:
	.size	_ZL11k_bin_bcastIXadL_ZL6op_subffEEfffJPKfEEvPKT0_PKT1_PT2_iii15HIP_vector_typeIjLj3EESB_SB_SB_SB_iiiiiiiiiiiDpT3_, .Lfunc_end17-_ZL11k_bin_bcastIXadL_ZL6op_subffEEfffJPKfEEvPKT0_PKT1_PT2_iii15HIP_vector_typeIjLj3EESB_SB_SB_SB_iiiiiiiiiiiDpT3_
                                        ; -- End function
	.set _ZL11k_bin_bcastIXadL_ZL6op_subffEEfffJPKfEEvPKT0_PKT1_PT2_iii15HIP_vector_typeIjLj3EESB_SB_SB_SB_iiiiiiiiiiiDpT3_.num_vgpr, 14
	.set _ZL11k_bin_bcastIXadL_ZL6op_subffEEfffJPKfEEvPKT0_PKT1_PT2_iii15HIP_vector_typeIjLj3EESB_SB_SB_SB_iiiiiiiiiiiDpT3_.num_agpr, 0
	.set _ZL11k_bin_bcastIXadL_ZL6op_subffEEfffJPKfEEvPKT0_PKT1_PT2_iii15HIP_vector_typeIjLj3EESB_SB_SB_SB_iiiiiiiiiiiDpT3_.numbered_sgpr, 44
	.set _ZL11k_bin_bcastIXadL_ZL6op_subffEEfffJPKfEEvPKT0_PKT1_PT2_iii15HIP_vector_typeIjLj3EESB_SB_SB_SB_iiiiiiiiiiiDpT3_.num_named_barrier, 0
	.set _ZL11k_bin_bcastIXadL_ZL6op_subffEEfffJPKfEEvPKT0_PKT1_PT2_iii15HIP_vector_typeIjLj3EESB_SB_SB_SB_iiiiiiiiiiiDpT3_.private_seg_size, 0
	.set _ZL11k_bin_bcastIXadL_ZL6op_subffEEfffJPKfEEvPKT0_PKT1_PT2_iii15HIP_vector_typeIjLj3EESB_SB_SB_SB_iiiiiiiiiiiDpT3_.uses_vcc, 1
	.set _ZL11k_bin_bcastIXadL_ZL6op_subffEEfffJPKfEEvPKT0_PKT1_PT2_iii15HIP_vector_typeIjLj3EESB_SB_SB_SB_iiiiiiiiiiiDpT3_.uses_flat_scratch, 0
	.set _ZL11k_bin_bcastIXadL_ZL6op_subffEEfffJPKfEEvPKT0_PKT1_PT2_iii15HIP_vector_typeIjLj3EESB_SB_SB_SB_iiiiiiiiiiiDpT3_.has_dyn_sized_stack, 0
	.set _ZL11k_bin_bcastIXadL_ZL6op_subffEEfffJPKfEEvPKT0_PKT1_PT2_iii15HIP_vector_typeIjLj3EESB_SB_SB_SB_iiiiiiiiiiiDpT3_.has_recursion, 0
	.set _ZL11k_bin_bcastIXadL_ZL6op_subffEEfffJPKfEEvPKT0_PKT1_PT2_iii15HIP_vector_typeIjLj3EESB_SB_SB_SB_iiiiiiiiiiiDpT3_.has_indirect_call, 0
	.section	.AMDGPU.csdata,"",@progbits
; Kernel info:
; codeLenInByte = 712
; TotalNumSgprs: 48
; NumVgprs: 14
; ScratchSize: 0
; MemoryBound: 0
; FloatMode: 240
; IeeeMode: 1
; LDSByteSize: 0 bytes/workgroup (compile time only)
; SGPRBlocks: 5
; VGPRBlocks: 3
; NumSGPRsForWavesPerEU: 48
; NumVGPRsForWavesPerEU: 14
; Occupancy: 10
; WaveLimiterHint : 1
; COMPUTE_PGM_RSRC2:SCRATCH_EN: 0
; COMPUTE_PGM_RSRC2:USER_SGPR: 6
; COMPUTE_PGM_RSRC2:TRAP_HANDLER: 0
; COMPUTE_PGM_RSRC2:TGID_X_EN: 1
; COMPUTE_PGM_RSRC2:TGID_Y_EN: 1
; COMPUTE_PGM_RSRC2:TGID_Z_EN: 1
; COMPUTE_PGM_RSRC2:TIDIG_COMP_CNT: 2
	.section	.text._ZL19k_bin_bcast_unravelIXadL_ZL6op_subffEE6__halfS0_S0_JPKS0_EEvPKT0_PKT1_PT2_15HIP_vector_typeIjLj3EESC_SC_jSC_SC_SC_SC_SC_SC_iiiiiiiiiiiDpT3_,"axG",@progbits,_ZL19k_bin_bcast_unravelIXadL_ZL6op_subffEE6__halfS0_S0_JPKS0_EEvPKT0_PKT1_PT2_15HIP_vector_typeIjLj3EESC_SC_jSC_SC_SC_SC_SC_SC_iiiiiiiiiiiDpT3_,comdat
	.globl	_ZL19k_bin_bcast_unravelIXadL_ZL6op_subffEE6__halfS0_S0_JPKS0_EEvPKT0_PKT1_PT2_15HIP_vector_typeIjLj3EESC_SC_jSC_SC_SC_SC_SC_SC_iiiiiiiiiiiDpT3_ ; -- Begin function _ZL19k_bin_bcast_unravelIXadL_ZL6op_subffEE6__halfS0_S0_JPKS0_EEvPKT0_PKT1_PT2_15HIP_vector_typeIjLj3EESC_SC_jSC_SC_SC_SC_SC_SC_iiiiiiiiiiiDpT3_
	.p2align	8
	.type	_ZL19k_bin_bcast_unravelIXadL_ZL6op_subffEE6__halfS0_S0_JPKS0_EEvPKT0_PKT1_PT2_15HIP_vector_typeIjLj3EESC_SC_jSC_SC_SC_SC_SC_SC_iiiiiiiiiiiDpT3_,@function
_ZL19k_bin_bcast_unravelIXadL_ZL6op_subffEE6__halfS0_S0_JPKS0_EEvPKT0_PKT1_PT2_15HIP_vector_typeIjLj3EESC_SC_jSC_SC_SC_SC_SC_SC_iiiiiiiiiiiDpT3_: ; @_ZL19k_bin_bcast_unravelIXadL_ZL6op_subffEE6__halfS0_S0_JPKS0_EEvPKT0_PKT1_PT2_15HIP_vector_typeIjLj3EESC_SC_jSC_SC_SC_SC_SC_SC_iiiiiiiiiiiDpT3_
; %bb.0:
	s_load_dword s0, s[4:5], 0xcc
	s_load_dwordx8 s[8:15], s[4:5], 0x38
	s_waitcnt lgkmcnt(0)
	s_and_b32 s0, s0, 0xffff
	s_mul_i32 s6, s6, s0
	v_add_u32_e32 v0, s6, v0
	v_mul_hi_u32 v1, v0, s10
	s_load_dwordx4 s[0:3], s[4:5], 0x18
	s_waitcnt lgkmcnt(0)
	s_load_dword s3, s[4:5], 0x2c
	v_add_u32_e32 v1, v0, v1
	v_lshrrev_b32_e32 v1, s11, v1
	v_mul_lo_u32 v2, v1, s12
	v_sub_u32_e32 v0, v0, v2
	v_mul_hi_u32 v2, v0, s13
	v_add_u32_e32 v2, v0, v2
	v_lshrrev_b32_e32 v3, s14, v2
	v_mul_lo_u32 v2, v3, s15
	v_cmp_gt_u32_e32 vcc, s8, v3
	v_sub_u32_e32 v0, v0, v2
	v_mul_hi_u32 v2, v0, s0
	v_add_u32_e32 v2, v0, v2
	v_lshrrev_b32_e32 v4, s1, v2
	v_mul_lo_u32 v2, v4, s2
	s_waitcnt lgkmcnt(0)
	v_cmp_gt_u32_e64 s[0:1], s3, v4
	v_sub_u32_e32 v0, v0, v2
	v_cmp_gt_u32_e64 s[2:3], s2, v0
	s_and_b64 s[0:1], s[2:3], s[0:1]
	s_and_b64 s[0:1], s[0:1], vcc
	v_cmp_gt_u32_e32 vcc, s9, v1
	s_and_b64 s[0:1], vcc, s[0:1]
	s_and_saveexec_b64 s[2:3], s[0:1]
	s_cbranch_execz .LBB18_4
; %bb.1:
	s_load_dwordx2 s[6:7], s[4:5], 0x0
	s_load_dwordx4 s[0:3], s[4:5], 0xa8
	s_load_dwordx8 s[8:15], s[4:5], 0x88
	s_load_dwordx4 s[24:27], s[4:5], 0x78
	s_load_dwordx8 s[16:23], s[4:5], 0x58
	v_mov_b32_e32 v2, 0
	s_waitcnt lgkmcnt(0)
	s_cmp_eq_u64 s[6:7], 0
	v_mov_b32_e32 v5, 0
	s_cbranch_scc1 .LBB18_3
; %bb.2:
	v_mul_lo_u32 v5, v1, s14
	v_mul_lo_u32 v7, v3, s13
	v_mul_lo_u32 v8, v4, s12
	v_mov_b32_e32 v6, 0
	v_mov_b32_e32 v9, s7
	v_add3_u32 v5, v7, v5, v8
	v_lshlrev_b64 v[7:8], 1, v[5:6]
	v_mul_lo_u32 v5, v0, s11
	v_add_co_u32_e32 v7, vcc, s6, v7
	v_addc_co_u32_e32 v8, vcc, v9, v8, vcc
	v_lshlrev_b64 v[5:6], 1, v[5:6]
	v_add_co_u32_e32 v5, vcc, v7, v5
	v_addc_co_u32_e32 v6, vcc, v8, v6, vcc
	global_load_ushort v5, v[5:6], off
	s_waitcnt vmcnt(0)
	v_cvt_f32_f16_e32 v5, v5
.LBB18_3:
	v_mul_hi_u32 v6, s19, v4
	v_mul_hi_u32 v7, s22, v3
	;; [unrolled: 1-line block ×4, first 2 shown]
	v_add_u32_e32 v6, v4, v6
	v_add_u32_e32 v7, v3, v7
	;; [unrolled: 1-line block ×3, first 2 shown]
	v_lshrrev_b32_e32 v6, s20, v6
	v_lshrrev_b32_e32 v7, s23, v7
	v_lshrrev_b32_e32 v8, s26, v8
	v_mul_lo_u32 v6, v6, s21
	v_mul_lo_u32 v7, v7, s24
	;; [unrolled: 1-line block ×3, first 2 shown]
	v_add_u32_e32 v9, v0, v9
	v_lshrrev_b32_e32 v9, s17, v9
	v_mul_lo_u32 v9, v9, s18
	v_sub_u32_e32 v6, v4, v6
	v_sub_u32_e32 v7, v3, v7
	;; [unrolled: 1-line block ×3, first 2 shown]
	v_mul_lo_u32 v8, v8, s2
	v_mul_lo_u32 v7, v7, s1
	;; [unrolled: 1-line block ×3, first 2 shown]
	v_sub_u32_e32 v6, v0, v9
	v_mul_lo_u32 v6, v6, s15
	s_load_dwordx2 s[0:1], s[4:5], 0xb8
	v_add3_u32 v8, v7, v8, v10
	v_ashrrev_i32_e32 v9, 31, v8
	v_lshlrev_b64 v[8:9], 1, v[8:9]
	v_ashrrev_i32_e32 v7, 31, v6
	s_waitcnt lgkmcnt(0)
	v_mov_b32_e32 v10, s1
	v_add_co_u32_e32 v8, vcc, s0, v8
	v_lshlrev_b64 v[6:7], 1, v[6:7]
	v_addc_co_u32_e32 v9, vcc, v10, v9, vcc
	v_add_co_u32_e32 v6, vcc, v8, v6
	v_addc_co_u32_e32 v7, vcc, v9, v7, vcc
	global_load_ushort v6, v[6:7], off
	v_mul_lo_u32 v7, v1, s10
	v_mul_lo_u32 v8, v3, s9
	;; [unrolled: 1-line block ×3, first 2 shown]
	s_load_dwordx2 s[0:1], s[4:5], 0x10
	v_mov_b32_e32 v1, v2
	v_lshlrev_b64 v[3:4], 1, v[0:1]
	v_add3_u32 v1, v8, v7, v9
	v_lshlrev_b64 v[0:1], 1, v[1:2]
	s_waitcnt lgkmcnt(0)
	v_mov_b32_e32 v2, s1
	v_add_co_u32_e32 v0, vcc, s0, v0
	v_addc_co_u32_e32 v1, vcc, v2, v1, vcc
	v_add_co_u32_e32 v0, vcc, v0, v3
	v_addc_co_u32_e32 v1, vcc, v1, v4, vcc
	s_waitcnt vmcnt(0)
	v_cvt_f32_f16_e32 v6, v6
	v_sub_f32_e32 v2, v5, v6
	v_cvt_f16_f32_e32 v2, v2
	global_store_short v[0:1], v2, off
.LBB18_4:
	s_endpgm
	.section	.rodata,"a",@progbits
	.p2align	6, 0x0
	.amdhsa_kernel _ZL19k_bin_bcast_unravelIXadL_ZL6op_subffEE6__halfS0_S0_JPKS0_EEvPKT0_PKT1_PT2_15HIP_vector_typeIjLj3EESC_SC_jSC_SC_SC_SC_SC_SC_iiiiiiiiiiiDpT3_
		.amdhsa_group_segment_fixed_size 0
		.amdhsa_private_segment_fixed_size 0
		.amdhsa_kernarg_size 448
		.amdhsa_user_sgpr_count 6
		.amdhsa_user_sgpr_private_segment_buffer 1
		.amdhsa_user_sgpr_dispatch_ptr 0
		.amdhsa_user_sgpr_queue_ptr 0
		.amdhsa_user_sgpr_kernarg_segment_ptr 1
		.amdhsa_user_sgpr_dispatch_id 0
		.amdhsa_user_sgpr_flat_scratch_init 0
		.amdhsa_user_sgpr_private_segment_size 0
		.amdhsa_uses_dynamic_stack 0
		.amdhsa_system_sgpr_private_segment_wavefront_offset 0
		.amdhsa_system_sgpr_workgroup_id_x 1
		.amdhsa_system_sgpr_workgroup_id_y 0
		.amdhsa_system_sgpr_workgroup_id_z 0
		.amdhsa_system_sgpr_workgroup_info 0
		.amdhsa_system_vgpr_workitem_id 0
		.amdhsa_next_free_vgpr 11
		.amdhsa_next_free_sgpr 28
		.amdhsa_reserve_vcc 1
		.amdhsa_reserve_flat_scratch 0
		.amdhsa_float_round_mode_32 0
		.amdhsa_float_round_mode_16_64 0
		.amdhsa_float_denorm_mode_32 3
		.amdhsa_float_denorm_mode_16_64 3
		.amdhsa_dx10_clamp 1
		.amdhsa_ieee_mode 1
		.amdhsa_fp16_overflow 0
		.amdhsa_exception_fp_ieee_invalid_op 0
		.amdhsa_exception_fp_denorm_src 0
		.amdhsa_exception_fp_ieee_div_zero 0
		.amdhsa_exception_fp_ieee_overflow 0
		.amdhsa_exception_fp_ieee_underflow 0
		.amdhsa_exception_fp_ieee_inexact 0
		.amdhsa_exception_int_div_zero 0
	.end_amdhsa_kernel
	.section	.text._ZL19k_bin_bcast_unravelIXadL_ZL6op_subffEE6__halfS0_S0_JPKS0_EEvPKT0_PKT1_PT2_15HIP_vector_typeIjLj3EESC_SC_jSC_SC_SC_SC_SC_SC_iiiiiiiiiiiDpT3_,"axG",@progbits,_ZL19k_bin_bcast_unravelIXadL_ZL6op_subffEE6__halfS0_S0_JPKS0_EEvPKT0_PKT1_PT2_15HIP_vector_typeIjLj3EESC_SC_jSC_SC_SC_SC_SC_SC_iiiiiiiiiiiDpT3_,comdat
.Lfunc_end18:
	.size	_ZL19k_bin_bcast_unravelIXadL_ZL6op_subffEE6__halfS0_S0_JPKS0_EEvPKT0_PKT1_PT2_15HIP_vector_typeIjLj3EESC_SC_jSC_SC_SC_SC_SC_SC_iiiiiiiiiiiDpT3_, .Lfunc_end18-_ZL19k_bin_bcast_unravelIXadL_ZL6op_subffEE6__halfS0_S0_JPKS0_EEvPKT0_PKT1_PT2_15HIP_vector_typeIjLj3EESC_SC_jSC_SC_SC_SC_SC_SC_iiiiiiiiiiiDpT3_
                                        ; -- End function
	.set _ZL19k_bin_bcast_unravelIXadL_ZL6op_subffEE6__halfS0_S0_JPKS0_EEvPKT0_PKT1_PT2_15HIP_vector_typeIjLj3EESC_SC_jSC_SC_SC_SC_SC_SC_iiiiiiiiiiiDpT3_.num_vgpr, 11
	.set _ZL19k_bin_bcast_unravelIXadL_ZL6op_subffEE6__halfS0_S0_JPKS0_EEvPKT0_PKT1_PT2_15HIP_vector_typeIjLj3EESC_SC_jSC_SC_SC_SC_SC_SC_iiiiiiiiiiiDpT3_.num_agpr, 0
	.set _ZL19k_bin_bcast_unravelIXadL_ZL6op_subffEE6__halfS0_S0_JPKS0_EEvPKT0_PKT1_PT2_15HIP_vector_typeIjLj3EESC_SC_jSC_SC_SC_SC_SC_SC_iiiiiiiiiiiDpT3_.numbered_sgpr, 28
	.set _ZL19k_bin_bcast_unravelIXadL_ZL6op_subffEE6__halfS0_S0_JPKS0_EEvPKT0_PKT1_PT2_15HIP_vector_typeIjLj3EESC_SC_jSC_SC_SC_SC_SC_SC_iiiiiiiiiiiDpT3_.num_named_barrier, 0
	.set _ZL19k_bin_bcast_unravelIXadL_ZL6op_subffEE6__halfS0_S0_JPKS0_EEvPKT0_PKT1_PT2_15HIP_vector_typeIjLj3EESC_SC_jSC_SC_SC_SC_SC_SC_iiiiiiiiiiiDpT3_.private_seg_size, 0
	.set _ZL19k_bin_bcast_unravelIXadL_ZL6op_subffEE6__halfS0_S0_JPKS0_EEvPKT0_PKT1_PT2_15HIP_vector_typeIjLj3EESC_SC_jSC_SC_SC_SC_SC_SC_iiiiiiiiiiiDpT3_.uses_vcc, 1
	.set _ZL19k_bin_bcast_unravelIXadL_ZL6op_subffEE6__halfS0_S0_JPKS0_EEvPKT0_PKT1_PT2_15HIP_vector_typeIjLj3EESC_SC_jSC_SC_SC_SC_SC_SC_iiiiiiiiiiiDpT3_.uses_flat_scratch, 0
	.set _ZL19k_bin_bcast_unravelIXadL_ZL6op_subffEE6__halfS0_S0_JPKS0_EEvPKT0_PKT1_PT2_15HIP_vector_typeIjLj3EESC_SC_jSC_SC_SC_SC_SC_SC_iiiiiiiiiiiDpT3_.has_dyn_sized_stack, 0
	.set _ZL19k_bin_bcast_unravelIXadL_ZL6op_subffEE6__halfS0_S0_JPKS0_EEvPKT0_PKT1_PT2_15HIP_vector_typeIjLj3EESC_SC_jSC_SC_SC_SC_SC_SC_iiiiiiiiiiiDpT3_.has_recursion, 0
	.set _ZL19k_bin_bcast_unravelIXadL_ZL6op_subffEE6__halfS0_S0_JPKS0_EEvPKT0_PKT1_PT2_15HIP_vector_typeIjLj3EESC_SC_jSC_SC_SC_SC_SC_SC_iiiiiiiiiiiDpT3_.has_indirect_call, 0
	.section	.AMDGPU.csdata,"",@progbits
; Kernel info:
; codeLenInByte = 672
; TotalNumSgprs: 32
; NumVgprs: 11
; ScratchSize: 0
; MemoryBound: 0
; FloatMode: 240
; IeeeMode: 1
; LDSByteSize: 0 bytes/workgroup (compile time only)
; SGPRBlocks: 3
; VGPRBlocks: 2
; NumSGPRsForWavesPerEU: 32
; NumVGPRsForWavesPerEU: 11
; Occupancy: 10
; WaveLimiterHint : 1
; COMPUTE_PGM_RSRC2:SCRATCH_EN: 0
; COMPUTE_PGM_RSRC2:USER_SGPR: 6
; COMPUTE_PGM_RSRC2:TRAP_HANDLER: 0
; COMPUTE_PGM_RSRC2:TGID_X_EN: 1
; COMPUTE_PGM_RSRC2:TGID_Y_EN: 0
; COMPUTE_PGM_RSRC2:TGID_Z_EN: 0
; COMPUTE_PGM_RSRC2:TIDIG_COMP_CNT: 0
	.section	.text._ZL11k_bin_bcastIXadL_ZL6op_subffEE6__halfS0_S0_JPKS0_EEvPKT0_PKT1_PT2_iii15HIP_vector_typeIjLj3EESC_SC_SC_SC_iiiiiiiiiiiDpT3_,"axG",@progbits,_ZL11k_bin_bcastIXadL_ZL6op_subffEE6__halfS0_S0_JPKS0_EEvPKT0_PKT1_PT2_iii15HIP_vector_typeIjLj3EESC_SC_SC_SC_iiiiiiiiiiiDpT3_,comdat
	.globl	_ZL11k_bin_bcastIXadL_ZL6op_subffEE6__halfS0_S0_JPKS0_EEvPKT0_PKT1_PT2_iii15HIP_vector_typeIjLj3EESC_SC_SC_SC_iiiiiiiiiiiDpT3_ ; -- Begin function _ZL11k_bin_bcastIXadL_ZL6op_subffEE6__halfS0_S0_JPKS0_EEvPKT0_PKT1_PT2_iii15HIP_vector_typeIjLj3EESC_SC_SC_SC_iiiiiiiiiiiDpT3_
	.p2align	8
	.type	_ZL11k_bin_bcastIXadL_ZL6op_subffEE6__halfS0_S0_JPKS0_EEvPKT0_PKT1_PT2_iii15HIP_vector_typeIjLj3EESC_SC_SC_SC_iiiiiiiiiiiDpT3_,@function
_ZL11k_bin_bcastIXadL_ZL6op_subffEE6__halfS0_S0_JPKS0_EEvPKT0_PKT1_PT2_iii15HIP_vector_typeIjLj3EESC_SC_SC_SC_iiiiiiiiiiiDpT3_: ; @_ZL11k_bin_bcastIXadL_ZL6op_subffEE6__halfS0_S0_JPKS0_EEvPKT0_PKT1_PT2_iii15HIP_vector_typeIjLj3EESC_SC_SC_SC_iiiiiiiiiiiDpT3_
; %bb.0:
	s_load_dwordx2 s[0:1], s[4:5], 0xa4
	s_load_dwordx8 s[12:19], s[4:5], 0x18
	s_add_u32 s2, s4, 0x98
	s_addc_u32 s3, s5, 0
	s_waitcnt lgkmcnt(0)
	s_and_b32 s1, s1, 0xffff
	s_mul_i32 s8, s8, s1
	v_add_u32_e32 v2, s8, v2
	v_mul_hi_u32 v3, v2, s15
	s_lshr_b32 s1, s0, 16
	s_and_b32 s8, s0, 0xffff
	s_mul_i32 s6, s6, s8
	v_add_u32_e32 v3, v2, v3
	v_lshrrev_b32_e32 v7, s16, v3
	v_mul_lo_u32 v4, v7, s17
	s_mul_i32 s7, s7, s1
	v_add_u32_e32 v0, s6, v0
	v_add_u32_e32 v3, s7, v1
	v_cmp_gt_u32_e32 vcc, s12, v0
	v_cmp_gt_u32_e64 s[0:1], s13, v3
	v_sub_u32_e32 v4, v2, v4
	s_and_b64 s[0:1], vcc, s[0:1]
	v_cmp_gt_u32_e32 vcc, s14, v7
	s_and_b64 s[0:1], s[0:1], vcc
	v_cmp_gt_u32_e32 vcc, s17, v4
	s_and_b64 s[0:1], s[0:1], vcc
	s_and_saveexec_b64 s[6:7], s[0:1]
	s_cbranch_execz .LBB19_6
; %bb.1:
	v_cmp_gt_i32_e32 vcc, s12, v0
	s_and_b64 exec, exec, vcc
	s_cbranch_execz .LBB19_6
; %bb.2:
	s_load_dwordx8 s[20:27], s[4:5], 0x60
	s_load_dword s9, s[2:3], 0x0
	s_load_dwordx2 s[6:7], s[4:5], 0x0
	s_load_dwordx8 s[36:43], s[4:5], 0x3c
	s_load_dword s13, s[4:5], 0x38
	s_load_dwordx2 s[10:11], s[4:5], 0x10
	s_nop 0
	s_load_dwordx4 s[0:3], s[4:5], 0x80
	s_load_dwordx2 s[14:15], s[4:5], 0x90
	s_waitcnt lgkmcnt(0)
	v_mul_lo_u32 v8, v4, s22
	v_mul_lo_u32 v9, v7, s21
	;; [unrolled: 1-line block ×4, first 2 shown]
	v_mul_hi_u32 v11, s42, v4
	s_load_dword s3, s[4:5], 0x5c
	v_add3_u32 v8, v9, v10, v8
	v_mul_hi_u32 v10, s39, v7
	v_add_u32_e32 v11, v4, v11
	v_mul_lo_u32 v1, v4, s26
	v_mul_lo_u32 v6, v3, s24
	v_add_u32_e32 v10, v7, v10
	v_lshrrev_b32_e32 v10, s40, v10
	v_mul_lo_u32 v10, v10, s41
	v_lshrrev_b32_e32 v11, s43, v11
	s_waitcnt lgkmcnt(0)
	v_mul_lo_u32 v11, v11, s3
	v_mov_b32_e32 v2, 0
	v_sub_u32_e32 v7, v7, v10
	v_mul_hi_u32 v10, s36, v3
	v_add3_u32 v1, v5, v6, v1
	v_lshlrev_b64 v[5:6], 1, v[1:2]
	v_sub_u32_e32 v4, v4, v11
	v_add_u32_e32 v10, v3, v10
	v_lshrrev_b32_e32 v10, s37, v10
	v_mul_lo_u32 v10, v10, s38
	v_mov_b32_e32 v9, v2
	v_mul_lo_u32 v12, v7, s1
	v_mul_lo_u32 v4, v4, s2
	v_sub_u32_e32 v3, v3, v10
	v_mul_lo_u32 v3, v3, s0
	v_mov_b32_e32 v1, s7
	v_add_co_u32_e32 v5, vcc, s6, v5
	v_lshlrev_b64 v[8:9], 1, v[8:9]
	v_addc_co_u32_e32 v6, vcc, v1, v6, vcc
	v_mov_b32_e32 v1, s11
	v_add_co_u32_e32 v7, vcc, s10, v8
	v_addc_co_u32_e32 v8, vcc, v1, v9, vcc
	v_add3_u32 v1, v12, v4, v3
	v_lshlrev_b64 v[3:4], 1, v[1:2]
	s_cmp_lg_u64 s[6:7], 0
	v_add_co_u32_e32 v9, vcc, s14, v3
	v_mul_lo_u32 v3, s23, v0
	s_cselect_b64 s[0:1], -1, 0
	v_mov_b32_e32 v1, s15
	v_addc_co_u32_e32 v10, vcc, v1, v4, vcc
	s_mul_i32 s6, s9, s8
	v_cndmask_b32_e64 v1, 0, 1, s[0:1]
	s_mov_b64 s[4:5], 0
	s_mul_i32 s7, s6, s23
	s_sub_i32 s8, 0, s13
	v_cmp_ne_u32_e64 s[0:1], 1, v1
	s_branch .LBB19_4
.LBB19_3:                               ;   in Loop: Header=BB19_4 Depth=1
	v_mul_hi_u32 v1, s18, v0
	v_add_u32_e32 v3, s7, v3
	v_add_u32_e32 v1, v0, v1
	v_lshrrev_b32_e32 v1, s19, v1
	v_mad_u64_u32 v[11:12], s[2:3], s8, v1, v[0:1]
	v_mul_lo_u32 v1, v11, s27
	v_lshlrev_b64 v[11:12], 1, v[1:2]
	v_ashrrev_i32_e32 v1, 31, v0
	v_add_co_u32_e32 v11, vcc, v9, v11
	v_addc_co_u32_e32 v12, vcc, v10, v12, vcc
	global_load_ushort v11, v[11:12], off
	s_waitcnt vmcnt(0)
	v_cvt_f32_f16_e32 v13, v11
	v_lshlrev_b64 v[11:12], 1, v[0:1]
	v_add_u32_e32 v0, s6, v0
	v_cmp_le_i32_e32 vcc, s12, v0
	v_sub_f32_e32 v1, v4, v13
	v_cvt_f16_f32_e32 v1, v1
	v_add_co_u32_e64 v11, s[2:3], v7, v11
	v_addc_co_u32_e64 v12, s[2:3], v8, v12, s[2:3]
	s_or_b64 s[4:5], vcc, s[4:5]
	global_store_short v[11:12], v1, off
	s_andn2_b64 exec, exec, s[4:5]
	s_cbranch_execz .LBB19_6
.LBB19_4:                               ; =>This Inner Loop Header: Depth=1
	s_and_b64 vcc, exec, s[0:1]
	v_mov_b32_e32 v4, 0
	s_cbranch_vccnz .LBB19_3
; %bb.5:                                ;   in Loop: Header=BB19_4 Depth=1
	v_ashrrev_i32_e32 v4, 31, v3
	v_lshlrev_b64 v[11:12], 1, v[3:4]
	v_add_co_u32_e32 v11, vcc, v5, v11
	v_addc_co_u32_e32 v12, vcc, v6, v12, vcc
	global_load_ushort v1, v[11:12], off
	s_waitcnt vmcnt(0)
	v_cvt_f32_f16_e32 v4, v1
	s_branch .LBB19_3
.LBB19_6:
	s_endpgm
	.section	.rodata,"a",@progbits
	.p2align	6, 0x0
	.amdhsa_kernel _ZL11k_bin_bcastIXadL_ZL6op_subffEE6__halfS0_S0_JPKS0_EEvPKT0_PKT1_PT2_iii15HIP_vector_typeIjLj3EESC_SC_SC_SC_iiiiiiiiiiiDpT3_
		.amdhsa_group_segment_fixed_size 0
		.amdhsa_private_segment_fixed_size 0
		.amdhsa_kernarg_size 408
		.amdhsa_user_sgpr_count 6
		.amdhsa_user_sgpr_private_segment_buffer 1
		.amdhsa_user_sgpr_dispatch_ptr 0
		.amdhsa_user_sgpr_queue_ptr 0
		.amdhsa_user_sgpr_kernarg_segment_ptr 1
		.amdhsa_user_sgpr_dispatch_id 0
		.amdhsa_user_sgpr_flat_scratch_init 0
		.amdhsa_user_sgpr_private_segment_size 0
		.amdhsa_uses_dynamic_stack 0
		.amdhsa_system_sgpr_private_segment_wavefront_offset 0
		.amdhsa_system_sgpr_workgroup_id_x 1
		.amdhsa_system_sgpr_workgroup_id_y 1
		.amdhsa_system_sgpr_workgroup_id_z 1
		.amdhsa_system_sgpr_workgroup_info 0
		.amdhsa_system_vgpr_workitem_id 2
		.amdhsa_next_free_vgpr 14
		.amdhsa_next_free_sgpr 44
		.amdhsa_reserve_vcc 1
		.amdhsa_reserve_flat_scratch 0
		.amdhsa_float_round_mode_32 0
		.amdhsa_float_round_mode_16_64 0
		.amdhsa_float_denorm_mode_32 3
		.amdhsa_float_denorm_mode_16_64 3
		.amdhsa_dx10_clamp 1
		.amdhsa_ieee_mode 1
		.amdhsa_fp16_overflow 0
		.amdhsa_exception_fp_ieee_invalid_op 0
		.amdhsa_exception_fp_denorm_src 0
		.amdhsa_exception_fp_ieee_div_zero 0
		.amdhsa_exception_fp_ieee_overflow 0
		.amdhsa_exception_fp_ieee_underflow 0
		.amdhsa_exception_fp_ieee_inexact 0
		.amdhsa_exception_int_div_zero 0
	.end_amdhsa_kernel
	.section	.text._ZL11k_bin_bcastIXadL_ZL6op_subffEE6__halfS0_S0_JPKS0_EEvPKT0_PKT1_PT2_iii15HIP_vector_typeIjLj3EESC_SC_SC_SC_iiiiiiiiiiiDpT3_,"axG",@progbits,_ZL11k_bin_bcastIXadL_ZL6op_subffEE6__halfS0_S0_JPKS0_EEvPKT0_PKT1_PT2_iii15HIP_vector_typeIjLj3EESC_SC_SC_SC_iiiiiiiiiiiDpT3_,comdat
.Lfunc_end19:
	.size	_ZL11k_bin_bcastIXadL_ZL6op_subffEE6__halfS0_S0_JPKS0_EEvPKT0_PKT1_PT2_iii15HIP_vector_typeIjLj3EESC_SC_SC_SC_iiiiiiiiiiiDpT3_, .Lfunc_end19-_ZL11k_bin_bcastIXadL_ZL6op_subffEE6__halfS0_S0_JPKS0_EEvPKT0_PKT1_PT2_iii15HIP_vector_typeIjLj3EESC_SC_SC_SC_iiiiiiiiiiiDpT3_
                                        ; -- End function
	.set _ZL11k_bin_bcastIXadL_ZL6op_subffEE6__halfS0_S0_JPKS0_EEvPKT0_PKT1_PT2_iii15HIP_vector_typeIjLj3EESC_SC_SC_SC_iiiiiiiiiiiDpT3_.num_vgpr, 14
	.set _ZL11k_bin_bcastIXadL_ZL6op_subffEE6__halfS0_S0_JPKS0_EEvPKT0_PKT1_PT2_iii15HIP_vector_typeIjLj3EESC_SC_SC_SC_iiiiiiiiiiiDpT3_.num_agpr, 0
	.set _ZL11k_bin_bcastIXadL_ZL6op_subffEE6__halfS0_S0_JPKS0_EEvPKT0_PKT1_PT2_iii15HIP_vector_typeIjLj3EESC_SC_SC_SC_iiiiiiiiiiiDpT3_.numbered_sgpr, 44
	.set _ZL11k_bin_bcastIXadL_ZL6op_subffEE6__halfS0_S0_JPKS0_EEvPKT0_PKT1_PT2_iii15HIP_vector_typeIjLj3EESC_SC_SC_SC_iiiiiiiiiiiDpT3_.num_named_barrier, 0
	.set _ZL11k_bin_bcastIXadL_ZL6op_subffEE6__halfS0_S0_JPKS0_EEvPKT0_PKT1_PT2_iii15HIP_vector_typeIjLj3EESC_SC_SC_SC_iiiiiiiiiiiDpT3_.private_seg_size, 0
	.set _ZL11k_bin_bcastIXadL_ZL6op_subffEE6__halfS0_S0_JPKS0_EEvPKT0_PKT1_PT2_iii15HIP_vector_typeIjLj3EESC_SC_SC_SC_iiiiiiiiiiiDpT3_.uses_vcc, 1
	.set _ZL11k_bin_bcastIXadL_ZL6op_subffEE6__halfS0_S0_JPKS0_EEvPKT0_PKT1_PT2_iii15HIP_vector_typeIjLj3EESC_SC_SC_SC_iiiiiiiiiiiDpT3_.uses_flat_scratch, 0
	.set _ZL11k_bin_bcastIXadL_ZL6op_subffEE6__halfS0_S0_JPKS0_EEvPKT0_PKT1_PT2_iii15HIP_vector_typeIjLj3EESC_SC_SC_SC_iiiiiiiiiiiDpT3_.has_dyn_sized_stack, 0
	.set _ZL11k_bin_bcastIXadL_ZL6op_subffEE6__halfS0_S0_JPKS0_EEvPKT0_PKT1_PT2_iii15HIP_vector_typeIjLj3EESC_SC_SC_SC_iiiiiiiiiiiDpT3_.has_recursion, 0
	.set _ZL11k_bin_bcastIXadL_ZL6op_subffEE6__halfS0_S0_JPKS0_EEvPKT0_PKT1_PT2_iii15HIP_vector_typeIjLj3EESC_SC_SC_SC_iiiiiiiiiiiDpT3_.has_indirect_call, 0
	.section	.AMDGPU.csdata,"",@progbits
; Kernel info:
; codeLenInByte = 728
; TotalNumSgprs: 48
; NumVgprs: 14
; ScratchSize: 0
; MemoryBound: 0
; FloatMode: 240
; IeeeMode: 1
; LDSByteSize: 0 bytes/workgroup (compile time only)
; SGPRBlocks: 5
; VGPRBlocks: 3
; NumSGPRsForWavesPerEU: 48
; NumVGPRsForWavesPerEU: 14
; Occupancy: 10
; WaveLimiterHint : 1
; COMPUTE_PGM_RSRC2:SCRATCH_EN: 0
; COMPUTE_PGM_RSRC2:USER_SGPR: 6
; COMPUTE_PGM_RSRC2:TRAP_HANDLER: 0
; COMPUTE_PGM_RSRC2:TGID_X_EN: 1
; COMPUTE_PGM_RSRC2:TGID_Y_EN: 1
; COMPUTE_PGM_RSRC2:TGID_Z_EN: 1
; COMPUTE_PGM_RSRC2:TIDIG_COMP_CNT: 2
	.section	.text._ZL19k_bin_bcast_unravelIXadL_ZL6op_subffEE6__halffS0_JPKfEEvPKT0_PKT1_PT2_15HIP_vector_typeIjLj3EESC_SC_jSC_SC_SC_SC_SC_SC_iiiiiiiiiiiDpT3_,"axG",@progbits,_ZL19k_bin_bcast_unravelIXadL_ZL6op_subffEE6__halffS0_JPKfEEvPKT0_PKT1_PT2_15HIP_vector_typeIjLj3EESC_SC_jSC_SC_SC_SC_SC_SC_iiiiiiiiiiiDpT3_,comdat
	.globl	_ZL19k_bin_bcast_unravelIXadL_ZL6op_subffEE6__halffS0_JPKfEEvPKT0_PKT1_PT2_15HIP_vector_typeIjLj3EESC_SC_jSC_SC_SC_SC_SC_SC_iiiiiiiiiiiDpT3_ ; -- Begin function _ZL19k_bin_bcast_unravelIXadL_ZL6op_subffEE6__halffS0_JPKfEEvPKT0_PKT1_PT2_15HIP_vector_typeIjLj3EESC_SC_jSC_SC_SC_SC_SC_SC_iiiiiiiiiiiDpT3_
	.p2align	8
	.type	_ZL19k_bin_bcast_unravelIXadL_ZL6op_subffEE6__halffS0_JPKfEEvPKT0_PKT1_PT2_15HIP_vector_typeIjLj3EESC_SC_jSC_SC_SC_SC_SC_SC_iiiiiiiiiiiDpT3_,@function
_ZL19k_bin_bcast_unravelIXadL_ZL6op_subffEE6__halffS0_JPKfEEvPKT0_PKT1_PT2_15HIP_vector_typeIjLj3EESC_SC_jSC_SC_SC_SC_SC_SC_iiiiiiiiiiiDpT3_: ; @_ZL19k_bin_bcast_unravelIXadL_ZL6op_subffEE6__halffS0_JPKfEEvPKT0_PKT1_PT2_15HIP_vector_typeIjLj3EESC_SC_jSC_SC_SC_SC_SC_SC_iiiiiiiiiiiDpT3_
; %bb.0:
	s_load_dword s0, s[4:5], 0xcc
	s_load_dwordx8 s[8:15], s[4:5], 0x38
	s_waitcnt lgkmcnt(0)
	s_and_b32 s0, s0, 0xffff
	s_mul_i32 s6, s6, s0
	v_add_u32_e32 v0, s6, v0
	v_mul_hi_u32 v1, v0, s10
	s_load_dwordx4 s[0:3], s[4:5], 0x18
	s_waitcnt lgkmcnt(0)
	s_load_dword s3, s[4:5], 0x2c
	v_add_u32_e32 v1, v0, v1
	v_lshrrev_b32_e32 v1, s11, v1
	v_mul_lo_u32 v2, v1, s12
	v_sub_u32_e32 v0, v0, v2
	v_mul_hi_u32 v2, v0, s13
	v_add_u32_e32 v2, v0, v2
	v_lshrrev_b32_e32 v3, s14, v2
	v_mul_lo_u32 v2, v3, s15
	v_cmp_gt_u32_e32 vcc, s8, v3
	v_sub_u32_e32 v0, v0, v2
	v_mul_hi_u32 v2, v0, s0
	v_add_u32_e32 v2, v0, v2
	v_lshrrev_b32_e32 v4, s1, v2
	v_mul_lo_u32 v2, v4, s2
	s_waitcnt lgkmcnt(0)
	v_cmp_gt_u32_e64 s[0:1], s3, v4
	v_sub_u32_e32 v0, v0, v2
	v_cmp_gt_u32_e64 s[2:3], s2, v0
	s_and_b64 s[0:1], s[2:3], s[0:1]
	s_and_b64 s[0:1], s[0:1], vcc
	v_cmp_gt_u32_e32 vcc, s9, v1
	s_and_b64 s[0:1], vcc, s[0:1]
	s_and_saveexec_b64 s[2:3], s[0:1]
	s_cbranch_execz .LBB20_4
; %bb.1:
	s_load_dwordx2 s[6:7], s[4:5], 0x0
	s_load_dwordx4 s[0:3], s[4:5], 0xa8
	s_load_dwordx8 s[8:15], s[4:5], 0x88
	s_load_dwordx4 s[24:27], s[4:5], 0x78
	s_load_dwordx8 s[16:23], s[4:5], 0x58
	v_mov_b32_e32 v2, 0
	s_waitcnt lgkmcnt(0)
	s_cmp_eq_u64 s[6:7], 0
	v_mov_b32_e32 v5, 0
	s_cbranch_scc1 .LBB20_3
; %bb.2:
	v_mul_lo_u32 v5, v1, s14
	v_mul_lo_u32 v7, v3, s13
	;; [unrolled: 1-line block ×3, first 2 shown]
	v_mov_b32_e32 v6, 0
	v_mov_b32_e32 v9, s7
	v_add3_u32 v5, v7, v5, v8
	v_lshlrev_b64 v[7:8], 1, v[5:6]
	v_mul_lo_u32 v5, v0, s11
	v_add_co_u32_e32 v7, vcc, s6, v7
	v_addc_co_u32_e32 v8, vcc, v9, v8, vcc
	v_lshlrev_b64 v[5:6], 1, v[5:6]
	v_add_co_u32_e32 v5, vcc, v7, v5
	v_addc_co_u32_e32 v6, vcc, v8, v6, vcc
	global_load_ushort v5, v[5:6], off
	s_waitcnt vmcnt(0)
	v_cvt_f32_f16_e32 v5, v5
.LBB20_3:
	v_mul_hi_u32 v6, s19, v4
	v_mul_hi_u32 v7, s22, v3
	;; [unrolled: 1-line block ×4, first 2 shown]
	v_add_u32_e32 v6, v4, v6
	v_add_u32_e32 v7, v3, v7
	;; [unrolled: 1-line block ×3, first 2 shown]
	v_lshrrev_b32_e32 v6, s20, v6
	v_lshrrev_b32_e32 v7, s23, v7
	;; [unrolled: 1-line block ×3, first 2 shown]
	v_mul_lo_u32 v6, v6, s21
	v_mul_lo_u32 v7, v7, s24
	;; [unrolled: 1-line block ×3, first 2 shown]
	v_add_u32_e32 v9, v0, v9
	v_lshrrev_b32_e32 v9, s17, v9
	v_mul_lo_u32 v9, v9, s18
	v_sub_u32_e32 v6, v4, v6
	v_sub_u32_e32 v7, v3, v7
	;; [unrolled: 1-line block ×3, first 2 shown]
	v_mul_lo_u32 v8, v8, s2
	v_mul_lo_u32 v7, v7, s1
	;; [unrolled: 1-line block ×3, first 2 shown]
	v_sub_u32_e32 v6, v0, v9
	v_mul_lo_u32 v6, v6, s15
	s_load_dwordx2 s[0:1], s[4:5], 0xb8
	v_add3_u32 v8, v7, v8, v10
	v_ashrrev_i32_e32 v9, 31, v8
	v_lshlrev_b64 v[8:9], 2, v[8:9]
	v_ashrrev_i32_e32 v7, 31, v6
	s_waitcnt lgkmcnt(0)
	v_mov_b32_e32 v10, s1
	v_add_co_u32_e32 v8, vcc, s0, v8
	v_lshlrev_b64 v[6:7], 2, v[6:7]
	v_addc_co_u32_e32 v9, vcc, v10, v9, vcc
	v_add_co_u32_e32 v6, vcc, v8, v6
	v_addc_co_u32_e32 v7, vcc, v9, v7, vcc
	global_load_dword v6, v[6:7], off
	v_mul_lo_u32 v7, v1, s10
	v_mul_lo_u32 v8, v3, s9
	;; [unrolled: 1-line block ×3, first 2 shown]
	s_load_dwordx2 s[0:1], s[4:5], 0x10
	v_mov_b32_e32 v1, v2
	v_lshlrev_b64 v[3:4], 1, v[0:1]
	v_add3_u32 v1, v8, v7, v9
	v_lshlrev_b64 v[0:1], 1, v[1:2]
	s_waitcnt lgkmcnt(0)
	v_mov_b32_e32 v2, s1
	v_add_co_u32_e32 v0, vcc, s0, v0
	v_addc_co_u32_e32 v1, vcc, v2, v1, vcc
	v_add_co_u32_e32 v0, vcc, v0, v3
	v_addc_co_u32_e32 v1, vcc, v1, v4, vcc
	s_waitcnt vmcnt(0)
	v_sub_f32_e32 v2, v5, v6
	v_cvt_f16_f32_e32 v2, v2
	global_store_short v[0:1], v2, off
.LBB20_4:
	s_endpgm
	.section	.rodata,"a",@progbits
	.p2align	6, 0x0
	.amdhsa_kernel _ZL19k_bin_bcast_unravelIXadL_ZL6op_subffEE6__halffS0_JPKfEEvPKT0_PKT1_PT2_15HIP_vector_typeIjLj3EESC_SC_jSC_SC_SC_SC_SC_SC_iiiiiiiiiiiDpT3_
		.amdhsa_group_segment_fixed_size 0
		.amdhsa_private_segment_fixed_size 0
		.amdhsa_kernarg_size 448
		.amdhsa_user_sgpr_count 6
		.amdhsa_user_sgpr_private_segment_buffer 1
		.amdhsa_user_sgpr_dispatch_ptr 0
		.amdhsa_user_sgpr_queue_ptr 0
		.amdhsa_user_sgpr_kernarg_segment_ptr 1
		.amdhsa_user_sgpr_dispatch_id 0
		.amdhsa_user_sgpr_flat_scratch_init 0
		.amdhsa_user_sgpr_private_segment_size 0
		.amdhsa_uses_dynamic_stack 0
		.amdhsa_system_sgpr_private_segment_wavefront_offset 0
		.amdhsa_system_sgpr_workgroup_id_x 1
		.amdhsa_system_sgpr_workgroup_id_y 0
		.amdhsa_system_sgpr_workgroup_id_z 0
		.amdhsa_system_sgpr_workgroup_info 0
		.amdhsa_system_vgpr_workitem_id 0
		.amdhsa_next_free_vgpr 11
		.amdhsa_next_free_sgpr 28
		.amdhsa_reserve_vcc 1
		.amdhsa_reserve_flat_scratch 0
		.amdhsa_float_round_mode_32 0
		.amdhsa_float_round_mode_16_64 0
		.amdhsa_float_denorm_mode_32 3
		.amdhsa_float_denorm_mode_16_64 3
		.amdhsa_dx10_clamp 1
		.amdhsa_ieee_mode 1
		.amdhsa_fp16_overflow 0
		.amdhsa_exception_fp_ieee_invalid_op 0
		.amdhsa_exception_fp_denorm_src 0
		.amdhsa_exception_fp_ieee_div_zero 0
		.amdhsa_exception_fp_ieee_overflow 0
		.amdhsa_exception_fp_ieee_underflow 0
		.amdhsa_exception_fp_ieee_inexact 0
		.amdhsa_exception_int_div_zero 0
	.end_amdhsa_kernel
	.section	.text._ZL19k_bin_bcast_unravelIXadL_ZL6op_subffEE6__halffS0_JPKfEEvPKT0_PKT1_PT2_15HIP_vector_typeIjLj3EESC_SC_jSC_SC_SC_SC_SC_SC_iiiiiiiiiiiDpT3_,"axG",@progbits,_ZL19k_bin_bcast_unravelIXadL_ZL6op_subffEE6__halffS0_JPKfEEvPKT0_PKT1_PT2_15HIP_vector_typeIjLj3EESC_SC_jSC_SC_SC_SC_SC_SC_iiiiiiiiiiiDpT3_,comdat
.Lfunc_end20:
	.size	_ZL19k_bin_bcast_unravelIXadL_ZL6op_subffEE6__halffS0_JPKfEEvPKT0_PKT1_PT2_15HIP_vector_typeIjLj3EESC_SC_jSC_SC_SC_SC_SC_SC_iiiiiiiiiiiDpT3_, .Lfunc_end20-_ZL19k_bin_bcast_unravelIXadL_ZL6op_subffEE6__halffS0_JPKfEEvPKT0_PKT1_PT2_15HIP_vector_typeIjLj3EESC_SC_jSC_SC_SC_SC_SC_SC_iiiiiiiiiiiDpT3_
                                        ; -- End function
	.set _ZL19k_bin_bcast_unravelIXadL_ZL6op_subffEE6__halffS0_JPKfEEvPKT0_PKT1_PT2_15HIP_vector_typeIjLj3EESC_SC_jSC_SC_SC_SC_SC_SC_iiiiiiiiiiiDpT3_.num_vgpr, 11
	.set _ZL19k_bin_bcast_unravelIXadL_ZL6op_subffEE6__halffS0_JPKfEEvPKT0_PKT1_PT2_15HIP_vector_typeIjLj3EESC_SC_jSC_SC_SC_SC_SC_SC_iiiiiiiiiiiDpT3_.num_agpr, 0
	.set _ZL19k_bin_bcast_unravelIXadL_ZL6op_subffEE6__halffS0_JPKfEEvPKT0_PKT1_PT2_15HIP_vector_typeIjLj3EESC_SC_jSC_SC_SC_SC_SC_SC_iiiiiiiiiiiDpT3_.numbered_sgpr, 28
	.set _ZL19k_bin_bcast_unravelIXadL_ZL6op_subffEE6__halffS0_JPKfEEvPKT0_PKT1_PT2_15HIP_vector_typeIjLj3EESC_SC_jSC_SC_SC_SC_SC_SC_iiiiiiiiiiiDpT3_.num_named_barrier, 0
	.set _ZL19k_bin_bcast_unravelIXadL_ZL6op_subffEE6__halffS0_JPKfEEvPKT0_PKT1_PT2_15HIP_vector_typeIjLj3EESC_SC_jSC_SC_SC_SC_SC_SC_iiiiiiiiiiiDpT3_.private_seg_size, 0
	.set _ZL19k_bin_bcast_unravelIXadL_ZL6op_subffEE6__halffS0_JPKfEEvPKT0_PKT1_PT2_15HIP_vector_typeIjLj3EESC_SC_jSC_SC_SC_SC_SC_SC_iiiiiiiiiiiDpT3_.uses_vcc, 1
	.set _ZL19k_bin_bcast_unravelIXadL_ZL6op_subffEE6__halffS0_JPKfEEvPKT0_PKT1_PT2_15HIP_vector_typeIjLj3EESC_SC_jSC_SC_SC_SC_SC_SC_iiiiiiiiiiiDpT3_.uses_flat_scratch, 0
	.set _ZL19k_bin_bcast_unravelIXadL_ZL6op_subffEE6__halffS0_JPKfEEvPKT0_PKT1_PT2_15HIP_vector_typeIjLj3EESC_SC_jSC_SC_SC_SC_SC_SC_iiiiiiiiiiiDpT3_.has_dyn_sized_stack, 0
	.set _ZL19k_bin_bcast_unravelIXadL_ZL6op_subffEE6__halffS0_JPKfEEvPKT0_PKT1_PT2_15HIP_vector_typeIjLj3EESC_SC_jSC_SC_SC_SC_SC_SC_iiiiiiiiiiiDpT3_.has_recursion, 0
	.set _ZL19k_bin_bcast_unravelIXadL_ZL6op_subffEE6__halffS0_JPKfEEvPKT0_PKT1_PT2_15HIP_vector_typeIjLj3EESC_SC_jSC_SC_SC_SC_SC_SC_iiiiiiiiiiiDpT3_.has_indirect_call, 0
	.section	.AMDGPU.csdata,"",@progbits
; Kernel info:
; codeLenInByte = 668
; TotalNumSgprs: 32
; NumVgprs: 11
; ScratchSize: 0
; MemoryBound: 0
; FloatMode: 240
; IeeeMode: 1
; LDSByteSize: 0 bytes/workgroup (compile time only)
; SGPRBlocks: 3
; VGPRBlocks: 2
; NumSGPRsForWavesPerEU: 32
; NumVGPRsForWavesPerEU: 11
; Occupancy: 10
; WaveLimiterHint : 1
; COMPUTE_PGM_RSRC2:SCRATCH_EN: 0
; COMPUTE_PGM_RSRC2:USER_SGPR: 6
; COMPUTE_PGM_RSRC2:TRAP_HANDLER: 0
; COMPUTE_PGM_RSRC2:TGID_X_EN: 1
; COMPUTE_PGM_RSRC2:TGID_Y_EN: 0
; COMPUTE_PGM_RSRC2:TGID_Z_EN: 0
; COMPUTE_PGM_RSRC2:TIDIG_COMP_CNT: 0
	.section	.text._ZL11k_bin_bcastIXadL_ZL6op_subffEE6__halffS0_JPKfEEvPKT0_PKT1_PT2_iii15HIP_vector_typeIjLj3EESC_SC_SC_SC_iiiiiiiiiiiDpT3_,"axG",@progbits,_ZL11k_bin_bcastIXadL_ZL6op_subffEE6__halffS0_JPKfEEvPKT0_PKT1_PT2_iii15HIP_vector_typeIjLj3EESC_SC_SC_SC_iiiiiiiiiiiDpT3_,comdat
	.globl	_ZL11k_bin_bcastIXadL_ZL6op_subffEE6__halffS0_JPKfEEvPKT0_PKT1_PT2_iii15HIP_vector_typeIjLj3EESC_SC_SC_SC_iiiiiiiiiiiDpT3_ ; -- Begin function _ZL11k_bin_bcastIXadL_ZL6op_subffEE6__halffS0_JPKfEEvPKT0_PKT1_PT2_iii15HIP_vector_typeIjLj3EESC_SC_SC_SC_iiiiiiiiiiiDpT3_
	.p2align	8
	.type	_ZL11k_bin_bcastIXadL_ZL6op_subffEE6__halffS0_JPKfEEvPKT0_PKT1_PT2_iii15HIP_vector_typeIjLj3EESC_SC_SC_SC_iiiiiiiiiiiDpT3_,@function
_ZL11k_bin_bcastIXadL_ZL6op_subffEE6__halffS0_JPKfEEvPKT0_PKT1_PT2_iii15HIP_vector_typeIjLj3EESC_SC_SC_SC_iiiiiiiiiiiDpT3_: ; @_ZL11k_bin_bcastIXadL_ZL6op_subffEE6__halffS0_JPKfEEvPKT0_PKT1_PT2_iii15HIP_vector_typeIjLj3EESC_SC_SC_SC_iiiiiiiiiiiDpT3_
; %bb.0:
	s_load_dwordx2 s[0:1], s[4:5], 0xa4
	s_load_dwordx8 s[12:19], s[4:5], 0x18
	s_add_u32 s2, s4, 0x98
	s_addc_u32 s3, s5, 0
	s_waitcnt lgkmcnt(0)
	s_and_b32 s1, s1, 0xffff
	s_mul_i32 s8, s8, s1
	v_add_u32_e32 v2, s8, v2
	v_mul_hi_u32 v3, v2, s15
	s_lshr_b32 s1, s0, 16
	s_and_b32 s8, s0, 0xffff
	s_mul_i32 s6, s6, s8
	v_add_u32_e32 v3, v2, v3
	v_lshrrev_b32_e32 v7, s16, v3
	v_mul_lo_u32 v4, v7, s17
	s_mul_i32 s7, s7, s1
	v_add_u32_e32 v0, s6, v0
	v_add_u32_e32 v3, s7, v1
	v_cmp_gt_u32_e32 vcc, s12, v0
	v_cmp_gt_u32_e64 s[0:1], s13, v3
	v_sub_u32_e32 v4, v2, v4
	s_and_b64 s[0:1], vcc, s[0:1]
	v_cmp_gt_u32_e32 vcc, s14, v7
	s_and_b64 s[0:1], s[0:1], vcc
	v_cmp_gt_u32_e32 vcc, s17, v4
	s_and_b64 s[0:1], s[0:1], vcc
	s_and_saveexec_b64 s[6:7], s[0:1]
	s_cbranch_execz .LBB21_6
; %bb.1:
	v_cmp_gt_i32_e32 vcc, s12, v0
	s_and_b64 exec, exec, vcc
	s_cbranch_execz .LBB21_6
; %bb.2:
	s_load_dwordx8 s[20:27], s[4:5], 0x60
	s_load_dword s9, s[2:3], 0x0
	s_load_dwordx2 s[6:7], s[4:5], 0x0
	s_load_dwordx8 s[36:43], s[4:5], 0x3c
	s_load_dword s13, s[4:5], 0x38
	s_load_dwordx2 s[10:11], s[4:5], 0x10
	s_nop 0
	s_load_dwordx4 s[0:3], s[4:5], 0x80
	s_load_dwordx2 s[14:15], s[4:5], 0x90
	s_waitcnt lgkmcnt(0)
	v_mul_lo_u32 v8, v4, s22
	v_mul_lo_u32 v9, v7, s21
	;; [unrolled: 1-line block ×4, first 2 shown]
	v_mul_hi_u32 v11, s42, v4
	s_load_dword s3, s[4:5], 0x5c
	v_add3_u32 v8, v9, v10, v8
	v_mul_hi_u32 v10, s39, v7
	v_add_u32_e32 v11, v4, v11
	v_mul_lo_u32 v1, v4, s26
	v_mul_lo_u32 v6, v3, s24
	v_add_u32_e32 v10, v7, v10
	v_lshrrev_b32_e32 v10, s40, v10
	v_mul_lo_u32 v10, v10, s41
	v_lshrrev_b32_e32 v11, s43, v11
	s_waitcnt lgkmcnt(0)
	v_mul_lo_u32 v11, v11, s3
	v_mov_b32_e32 v2, 0
	v_sub_u32_e32 v7, v7, v10
	v_mul_hi_u32 v10, s36, v3
	v_add3_u32 v1, v5, v6, v1
	v_lshlrev_b64 v[5:6], 1, v[1:2]
	v_sub_u32_e32 v4, v4, v11
	v_add_u32_e32 v10, v3, v10
	v_lshrrev_b32_e32 v10, s37, v10
	v_mul_lo_u32 v10, v10, s38
	v_mov_b32_e32 v9, v2
	v_mul_lo_u32 v12, v7, s1
	v_mul_lo_u32 v4, v4, s2
	v_sub_u32_e32 v3, v3, v10
	v_mul_lo_u32 v3, v3, s0
	v_mov_b32_e32 v1, s7
	v_add_co_u32_e32 v5, vcc, s6, v5
	v_lshlrev_b64 v[8:9], 1, v[8:9]
	v_addc_co_u32_e32 v6, vcc, v1, v6, vcc
	v_mov_b32_e32 v1, s11
	v_add_co_u32_e32 v7, vcc, s10, v8
	v_addc_co_u32_e32 v8, vcc, v1, v9, vcc
	v_add3_u32 v1, v12, v4, v3
	v_lshlrev_b64 v[3:4], 2, v[1:2]
	s_cmp_lg_u64 s[6:7], 0
	v_add_co_u32_e32 v9, vcc, s14, v3
	v_mul_lo_u32 v3, s23, v0
	s_cselect_b64 s[0:1], -1, 0
	v_mov_b32_e32 v1, s15
	v_addc_co_u32_e32 v10, vcc, v1, v4, vcc
	s_mul_i32 s6, s9, s8
	v_cndmask_b32_e64 v1, 0, 1, s[0:1]
	s_mov_b64 s[4:5], 0
	s_mul_i32 s7, s6, s23
	s_sub_i32 s8, 0, s13
	v_cmp_ne_u32_e64 s[0:1], 1, v1
	s_branch .LBB21_4
.LBB21_3:                               ;   in Loop: Header=BB21_4 Depth=1
	v_mul_hi_u32 v1, s18, v0
	v_add_u32_e32 v3, s7, v3
	v_add_u32_e32 v1, v0, v1
	v_lshrrev_b32_e32 v1, s19, v1
	v_mad_u64_u32 v[11:12], s[2:3], s8, v1, v[0:1]
	v_mul_lo_u32 v1, v11, s27
	v_lshlrev_b64 v[11:12], 2, v[1:2]
	v_ashrrev_i32_e32 v1, 31, v0
	v_add_co_u32_e32 v11, vcc, v9, v11
	v_addc_co_u32_e32 v12, vcc, v10, v12, vcc
	global_load_dword v13, v[11:12], off
	v_lshlrev_b64 v[11:12], 1, v[0:1]
	v_add_u32_e32 v0, s6, v0
	v_cmp_le_i32_e32 vcc, s12, v0
	v_add_co_u32_e64 v11, s[2:3], v7, v11
	v_addc_co_u32_e64 v12, s[2:3], v8, v12, s[2:3]
	s_or_b64 s[4:5], vcc, s[4:5]
	s_waitcnt vmcnt(0)
	v_sub_f32_e32 v1, v4, v13
	v_cvt_f16_f32_e32 v1, v1
	global_store_short v[11:12], v1, off
	s_andn2_b64 exec, exec, s[4:5]
	s_cbranch_execz .LBB21_6
.LBB21_4:                               ; =>This Inner Loop Header: Depth=1
	s_and_b64 vcc, exec, s[0:1]
	v_mov_b32_e32 v4, 0
	s_cbranch_vccnz .LBB21_3
; %bb.5:                                ;   in Loop: Header=BB21_4 Depth=1
	v_ashrrev_i32_e32 v4, 31, v3
	v_lshlrev_b64 v[11:12], 1, v[3:4]
	v_add_co_u32_e32 v11, vcc, v5, v11
	v_addc_co_u32_e32 v12, vcc, v6, v12, vcc
	global_load_ushort v1, v[11:12], off
	s_waitcnt vmcnt(0)
	v_cvt_f32_f16_e32 v4, v1
	s_branch .LBB21_3
.LBB21_6:
	s_endpgm
	.section	.rodata,"a",@progbits
	.p2align	6, 0x0
	.amdhsa_kernel _ZL11k_bin_bcastIXadL_ZL6op_subffEE6__halffS0_JPKfEEvPKT0_PKT1_PT2_iii15HIP_vector_typeIjLj3EESC_SC_SC_SC_iiiiiiiiiiiDpT3_
		.amdhsa_group_segment_fixed_size 0
		.amdhsa_private_segment_fixed_size 0
		.amdhsa_kernarg_size 408
		.amdhsa_user_sgpr_count 6
		.amdhsa_user_sgpr_private_segment_buffer 1
		.amdhsa_user_sgpr_dispatch_ptr 0
		.amdhsa_user_sgpr_queue_ptr 0
		.amdhsa_user_sgpr_kernarg_segment_ptr 1
		.amdhsa_user_sgpr_dispatch_id 0
		.amdhsa_user_sgpr_flat_scratch_init 0
		.amdhsa_user_sgpr_private_segment_size 0
		.amdhsa_uses_dynamic_stack 0
		.amdhsa_system_sgpr_private_segment_wavefront_offset 0
		.amdhsa_system_sgpr_workgroup_id_x 1
		.amdhsa_system_sgpr_workgroup_id_y 1
		.amdhsa_system_sgpr_workgroup_id_z 1
		.amdhsa_system_sgpr_workgroup_info 0
		.amdhsa_system_vgpr_workitem_id 2
		.amdhsa_next_free_vgpr 14
		.amdhsa_next_free_sgpr 44
		.amdhsa_reserve_vcc 1
		.amdhsa_reserve_flat_scratch 0
		.amdhsa_float_round_mode_32 0
		.amdhsa_float_round_mode_16_64 0
		.amdhsa_float_denorm_mode_32 3
		.amdhsa_float_denorm_mode_16_64 3
		.amdhsa_dx10_clamp 1
		.amdhsa_ieee_mode 1
		.amdhsa_fp16_overflow 0
		.amdhsa_exception_fp_ieee_invalid_op 0
		.amdhsa_exception_fp_denorm_src 0
		.amdhsa_exception_fp_ieee_div_zero 0
		.amdhsa_exception_fp_ieee_overflow 0
		.amdhsa_exception_fp_ieee_underflow 0
		.amdhsa_exception_fp_ieee_inexact 0
		.amdhsa_exception_int_div_zero 0
	.end_amdhsa_kernel
	.section	.text._ZL11k_bin_bcastIXadL_ZL6op_subffEE6__halffS0_JPKfEEvPKT0_PKT1_PT2_iii15HIP_vector_typeIjLj3EESC_SC_SC_SC_iiiiiiiiiiiDpT3_,"axG",@progbits,_ZL11k_bin_bcastIXadL_ZL6op_subffEE6__halffS0_JPKfEEvPKT0_PKT1_PT2_iii15HIP_vector_typeIjLj3EESC_SC_SC_SC_iiiiiiiiiiiDpT3_,comdat
.Lfunc_end21:
	.size	_ZL11k_bin_bcastIXadL_ZL6op_subffEE6__halffS0_JPKfEEvPKT0_PKT1_PT2_iii15HIP_vector_typeIjLj3EESC_SC_SC_SC_iiiiiiiiiiiDpT3_, .Lfunc_end21-_ZL11k_bin_bcastIXadL_ZL6op_subffEE6__halffS0_JPKfEEvPKT0_PKT1_PT2_iii15HIP_vector_typeIjLj3EESC_SC_SC_SC_iiiiiiiiiiiDpT3_
                                        ; -- End function
	.set _ZL11k_bin_bcastIXadL_ZL6op_subffEE6__halffS0_JPKfEEvPKT0_PKT1_PT2_iii15HIP_vector_typeIjLj3EESC_SC_SC_SC_iiiiiiiiiiiDpT3_.num_vgpr, 14
	.set _ZL11k_bin_bcastIXadL_ZL6op_subffEE6__halffS0_JPKfEEvPKT0_PKT1_PT2_iii15HIP_vector_typeIjLj3EESC_SC_SC_SC_iiiiiiiiiiiDpT3_.num_agpr, 0
	.set _ZL11k_bin_bcastIXadL_ZL6op_subffEE6__halffS0_JPKfEEvPKT0_PKT1_PT2_iii15HIP_vector_typeIjLj3EESC_SC_SC_SC_iiiiiiiiiiiDpT3_.numbered_sgpr, 44
	.set _ZL11k_bin_bcastIXadL_ZL6op_subffEE6__halffS0_JPKfEEvPKT0_PKT1_PT2_iii15HIP_vector_typeIjLj3EESC_SC_SC_SC_iiiiiiiiiiiDpT3_.num_named_barrier, 0
	.set _ZL11k_bin_bcastIXadL_ZL6op_subffEE6__halffS0_JPKfEEvPKT0_PKT1_PT2_iii15HIP_vector_typeIjLj3EESC_SC_SC_SC_iiiiiiiiiiiDpT3_.private_seg_size, 0
	.set _ZL11k_bin_bcastIXadL_ZL6op_subffEE6__halffS0_JPKfEEvPKT0_PKT1_PT2_iii15HIP_vector_typeIjLj3EESC_SC_SC_SC_iiiiiiiiiiiDpT3_.uses_vcc, 1
	.set _ZL11k_bin_bcastIXadL_ZL6op_subffEE6__halffS0_JPKfEEvPKT0_PKT1_PT2_iii15HIP_vector_typeIjLj3EESC_SC_SC_SC_iiiiiiiiiiiDpT3_.uses_flat_scratch, 0
	.set _ZL11k_bin_bcastIXadL_ZL6op_subffEE6__halffS0_JPKfEEvPKT0_PKT1_PT2_iii15HIP_vector_typeIjLj3EESC_SC_SC_SC_iiiiiiiiiiiDpT3_.has_dyn_sized_stack, 0
	.set _ZL11k_bin_bcastIXadL_ZL6op_subffEE6__halffS0_JPKfEEvPKT0_PKT1_PT2_iii15HIP_vector_typeIjLj3EESC_SC_SC_SC_iiiiiiiiiiiDpT3_.has_recursion, 0
	.set _ZL11k_bin_bcastIXadL_ZL6op_subffEE6__halffS0_JPKfEEvPKT0_PKT1_PT2_iii15HIP_vector_typeIjLj3EESC_SC_SC_SC_iiiiiiiiiiiDpT3_.has_indirect_call, 0
	.section	.AMDGPU.csdata,"",@progbits
; Kernel info:
; codeLenInByte = 724
; TotalNumSgprs: 48
; NumVgprs: 14
; ScratchSize: 0
; MemoryBound: 0
; FloatMode: 240
; IeeeMode: 1
; LDSByteSize: 0 bytes/workgroup (compile time only)
; SGPRBlocks: 5
; VGPRBlocks: 3
; NumSGPRsForWavesPerEU: 48
; NumVGPRsForWavesPerEU: 14
; Occupancy: 10
; WaveLimiterHint : 1
; COMPUTE_PGM_RSRC2:SCRATCH_EN: 0
; COMPUTE_PGM_RSRC2:USER_SGPR: 6
; COMPUTE_PGM_RSRC2:TRAP_HANDLER: 0
; COMPUTE_PGM_RSRC2:TGID_X_EN: 1
; COMPUTE_PGM_RSRC2:TGID_Y_EN: 1
; COMPUTE_PGM_RSRC2:TGID_Z_EN: 1
; COMPUTE_PGM_RSRC2:TIDIG_COMP_CNT: 2
	.section	.text._ZL19k_bin_bcast_unravelIXadL_ZL6op_subffEE6__halfffJPKfEEvPKT0_PKT1_PT2_15HIP_vector_typeIjLj3EESC_SC_jSC_SC_SC_SC_SC_SC_iiiiiiiiiiiDpT3_,"axG",@progbits,_ZL19k_bin_bcast_unravelIXadL_ZL6op_subffEE6__halfffJPKfEEvPKT0_PKT1_PT2_15HIP_vector_typeIjLj3EESC_SC_jSC_SC_SC_SC_SC_SC_iiiiiiiiiiiDpT3_,comdat
	.globl	_ZL19k_bin_bcast_unravelIXadL_ZL6op_subffEE6__halfffJPKfEEvPKT0_PKT1_PT2_15HIP_vector_typeIjLj3EESC_SC_jSC_SC_SC_SC_SC_SC_iiiiiiiiiiiDpT3_ ; -- Begin function _ZL19k_bin_bcast_unravelIXadL_ZL6op_subffEE6__halfffJPKfEEvPKT0_PKT1_PT2_15HIP_vector_typeIjLj3EESC_SC_jSC_SC_SC_SC_SC_SC_iiiiiiiiiiiDpT3_
	.p2align	8
	.type	_ZL19k_bin_bcast_unravelIXadL_ZL6op_subffEE6__halfffJPKfEEvPKT0_PKT1_PT2_15HIP_vector_typeIjLj3EESC_SC_jSC_SC_SC_SC_SC_SC_iiiiiiiiiiiDpT3_,@function
_ZL19k_bin_bcast_unravelIXadL_ZL6op_subffEE6__halfffJPKfEEvPKT0_PKT1_PT2_15HIP_vector_typeIjLj3EESC_SC_jSC_SC_SC_SC_SC_SC_iiiiiiiiiiiDpT3_: ; @_ZL19k_bin_bcast_unravelIXadL_ZL6op_subffEE6__halfffJPKfEEvPKT0_PKT1_PT2_15HIP_vector_typeIjLj3EESC_SC_jSC_SC_SC_SC_SC_SC_iiiiiiiiiiiDpT3_
; %bb.0:
	s_load_dword s0, s[4:5], 0xcc
	s_load_dwordx8 s[8:15], s[4:5], 0x38
	s_waitcnt lgkmcnt(0)
	s_and_b32 s0, s0, 0xffff
	s_mul_i32 s6, s6, s0
	v_add_u32_e32 v0, s6, v0
	v_mul_hi_u32 v1, v0, s10
	s_load_dwordx4 s[0:3], s[4:5], 0x18
	s_waitcnt lgkmcnt(0)
	s_load_dword s3, s[4:5], 0x2c
	v_add_u32_e32 v1, v0, v1
	v_lshrrev_b32_e32 v1, s11, v1
	v_mul_lo_u32 v2, v1, s12
	v_sub_u32_e32 v0, v0, v2
	v_mul_hi_u32 v2, v0, s13
	v_add_u32_e32 v2, v0, v2
	v_lshrrev_b32_e32 v3, s14, v2
	v_mul_lo_u32 v2, v3, s15
	v_cmp_gt_u32_e32 vcc, s8, v3
	v_sub_u32_e32 v0, v0, v2
	v_mul_hi_u32 v2, v0, s0
	v_add_u32_e32 v2, v0, v2
	v_lshrrev_b32_e32 v4, s1, v2
	v_mul_lo_u32 v2, v4, s2
	s_waitcnt lgkmcnt(0)
	v_cmp_gt_u32_e64 s[0:1], s3, v4
	v_sub_u32_e32 v0, v0, v2
	v_cmp_gt_u32_e64 s[2:3], s2, v0
	s_and_b64 s[0:1], s[2:3], s[0:1]
	s_and_b64 s[0:1], s[0:1], vcc
	v_cmp_gt_u32_e32 vcc, s9, v1
	s_and_b64 s[0:1], vcc, s[0:1]
	s_and_saveexec_b64 s[2:3], s[0:1]
	s_cbranch_execz .LBB22_4
; %bb.1:
	s_load_dwordx2 s[6:7], s[4:5], 0x0
	s_load_dwordx4 s[0:3], s[4:5], 0xa8
	s_load_dwordx8 s[8:15], s[4:5], 0x88
	s_load_dwordx4 s[24:27], s[4:5], 0x78
	s_load_dwordx8 s[16:23], s[4:5], 0x58
	v_mov_b32_e32 v2, 0
	s_waitcnt lgkmcnt(0)
	s_cmp_eq_u64 s[6:7], 0
	v_mov_b32_e32 v5, 0
	s_cbranch_scc1 .LBB22_3
; %bb.2:
	v_mul_lo_u32 v5, v1, s14
	v_mul_lo_u32 v7, v3, s13
	;; [unrolled: 1-line block ×3, first 2 shown]
	v_mov_b32_e32 v6, 0
	v_mov_b32_e32 v9, s7
	v_add3_u32 v5, v7, v5, v8
	v_lshlrev_b64 v[7:8], 1, v[5:6]
	v_mul_lo_u32 v5, v0, s11
	v_add_co_u32_e32 v7, vcc, s6, v7
	v_addc_co_u32_e32 v8, vcc, v9, v8, vcc
	v_lshlrev_b64 v[5:6], 1, v[5:6]
	v_add_co_u32_e32 v5, vcc, v7, v5
	v_addc_co_u32_e32 v6, vcc, v8, v6, vcc
	global_load_ushort v5, v[5:6], off
	s_waitcnt vmcnt(0)
	v_cvt_f32_f16_e32 v5, v5
.LBB22_3:
	v_mul_hi_u32 v6, s19, v4
	v_mul_hi_u32 v7, s22, v3
	v_mul_hi_u32 v8, s25, v1
	v_mul_hi_u32 v9, s16, v0
	v_add_u32_e32 v6, v4, v6
	v_add_u32_e32 v7, v3, v7
	v_add_u32_e32 v8, v1, v8
	v_lshrrev_b32_e32 v6, s20, v6
	v_lshrrev_b32_e32 v7, s23, v7
	;; [unrolled: 1-line block ×3, first 2 shown]
	v_mul_lo_u32 v6, v6, s21
	v_mul_lo_u32 v7, v7, s24
	v_mul_lo_u32 v8, v8, s27
	v_add_u32_e32 v9, v0, v9
	v_lshrrev_b32_e32 v9, s17, v9
	v_mul_lo_u32 v9, v9, s18
	v_sub_u32_e32 v6, v4, v6
	v_sub_u32_e32 v7, v3, v7
	;; [unrolled: 1-line block ×3, first 2 shown]
	v_mul_lo_u32 v8, v8, s2
	v_mul_lo_u32 v7, v7, s1
	;; [unrolled: 1-line block ×3, first 2 shown]
	v_sub_u32_e32 v6, v0, v9
	v_mul_lo_u32 v6, v6, s15
	s_load_dwordx2 s[0:1], s[4:5], 0xb8
	v_add3_u32 v8, v7, v8, v10
	v_ashrrev_i32_e32 v9, 31, v8
	v_lshlrev_b64 v[8:9], 2, v[8:9]
	v_ashrrev_i32_e32 v7, 31, v6
	s_waitcnt lgkmcnt(0)
	v_mov_b32_e32 v10, s1
	v_add_co_u32_e32 v8, vcc, s0, v8
	v_lshlrev_b64 v[6:7], 2, v[6:7]
	v_addc_co_u32_e32 v9, vcc, v10, v9, vcc
	v_add_co_u32_e32 v6, vcc, v8, v6
	v_addc_co_u32_e32 v7, vcc, v9, v7, vcc
	global_load_dword v6, v[6:7], off
	v_mul_lo_u32 v7, v1, s10
	v_mul_lo_u32 v8, v3, s9
	;; [unrolled: 1-line block ×3, first 2 shown]
	s_load_dwordx2 s[0:1], s[4:5], 0x10
	v_mov_b32_e32 v1, v2
	v_lshlrev_b64 v[3:4], 2, v[0:1]
	v_add3_u32 v1, v8, v7, v9
	v_lshlrev_b64 v[0:1], 2, v[1:2]
	s_waitcnt lgkmcnt(0)
	v_mov_b32_e32 v2, s1
	v_add_co_u32_e32 v0, vcc, s0, v0
	v_addc_co_u32_e32 v1, vcc, v2, v1, vcc
	v_add_co_u32_e32 v0, vcc, v0, v3
	v_addc_co_u32_e32 v1, vcc, v1, v4, vcc
	s_waitcnt vmcnt(0)
	v_sub_f32_e32 v2, v5, v6
	global_store_dword v[0:1], v2, off
.LBB22_4:
	s_endpgm
	.section	.rodata,"a",@progbits
	.p2align	6, 0x0
	.amdhsa_kernel _ZL19k_bin_bcast_unravelIXadL_ZL6op_subffEE6__halfffJPKfEEvPKT0_PKT1_PT2_15HIP_vector_typeIjLj3EESC_SC_jSC_SC_SC_SC_SC_SC_iiiiiiiiiiiDpT3_
		.amdhsa_group_segment_fixed_size 0
		.amdhsa_private_segment_fixed_size 0
		.amdhsa_kernarg_size 448
		.amdhsa_user_sgpr_count 6
		.amdhsa_user_sgpr_private_segment_buffer 1
		.amdhsa_user_sgpr_dispatch_ptr 0
		.amdhsa_user_sgpr_queue_ptr 0
		.amdhsa_user_sgpr_kernarg_segment_ptr 1
		.amdhsa_user_sgpr_dispatch_id 0
		.amdhsa_user_sgpr_flat_scratch_init 0
		.amdhsa_user_sgpr_private_segment_size 0
		.amdhsa_uses_dynamic_stack 0
		.amdhsa_system_sgpr_private_segment_wavefront_offset 0
		.amdhsa_system_sgpr_workgroup_id_x 1
		.amdhsa_system_sgpr_workgroup_id_y 0
		.amdhsa_system_sgpr_workgroup_id_z 0
		.amdhsa_system_sgpr_workgroup_info 0
		.amdhsa_system_vgpr_workitem_id 0
		.amdhsa_next_free_vgpr 11
		.amdhsa_next_free_sgpr 28
		.amdhsa_reserve_vcc 1
		.amdhsa_reserve_flat_scratch 0
		.amdhsa_float_round_mode_32 0
		.amdhsa_float_round_mode_16_64 0
		.amdhsa_float_denorm_mode_32 3
		.amdhsa_float_denorm_mode_16_64 3
		.amdhsa_dx10_clamp 1
		.amdhsa_ieee_mode 1
		.amdhsa_fp16_overflow 0
		.amdhsa_exception_fp_ieee_invalid_op 0
		.amdhsa_exception_fp_denorm_src 0
		.amdhsa_exception_fp_ieee_div_zero 0
		.amdhsa_exception_fp_ieee_overflow 0
		.amdhsa_exception_fp_ieee_underflow 0
		.amdhsa_exception_fp_ieee_inexact 0
		.amdhsa_exception_int_div_zero 0
	.end_amdhsa_kernel
	.section	.text._ZL19k_bin_bcast_unravelIXadL_ZL6op_subffEE6__halfffJPKfEEvPKT0_PKT1_PT2_15HIP_vector_typeIjLj3EESC_SC_jSC_SC_SC_SC_SC_SC_iiiiiiiiiiiDpT3_,"axG",@progbits,_ZL19k_bin_bcast_unravelIXadL_ZL6op_subffEE6__halfffJPKfEEvPKT0_PKT1_PT2_15HIP_vector_typeIjLj3EESC_SC_jSC_SC_SC_SC_SC_SC_iiiiiiiiiiiDpT3_,comdat
.Lfunc_end22:
	.size	_ZL19k_bin_bcast_unravelIXadL_ZL6op_subffEE6__halfffJPKfEEvPKT0_PKT1_PT2_15HIP_vector_typeIjLj3EESC_SC_jSC_SC_SC_SC_SC_SC_iiiiiiiiiiiDpT3_, .Lfunc_end22-_ZL19k_bin_bcast_unravelIXadL_ZL6op_subffEE6__halfffJPKfEEvPKT0_PKT1_PT2_15HIP_vector_typeIjLj3EESC_SC_jSC_SC_SC_SC_SC_SC_iiiiiiiiiiiDpT3_
                                        ; -- End function
	.set _ZL19k_bin_bcast_unravelIXadL_ZL6op_subffEE6__halfffJPKfEEvPKT0_PKT1_PT2_15HIP_vector_typeIjLj3EESC_SC_jSC_SC_SC_SC_SC_SC_iiiiiiiiiiiDpT3_.num_vgpr, 11
	.set _ZL19k_bin_bcast_unravelIXadL_ZL6op_subffEE6__halfffJPKfEEvPKT0_PKT1_PT2_15HIP_vector_typeIjLj3EESC_SC_jSC_SC_SC_SC_SC_SC_iiiiiiiiiiiDpT3_.num_agpr, 0
	.set _ZL19k_bin_bcast_unravelIXadL_ZL6op_subffEE6__halfffJPKfEEvPKT0_PKT1_PT2_15HIP_vector_typeIjLj3EESC_SC_jSC_SC_SC_SC_SC_SC_iiiiiiiiiiiDpT3_.numbered_sgpr, 28
	.set _ZL19k_bin_bcast_unravelIXadL_ZL6op_subffEE6__halfffJPKfEEvPKT0_PKT1_PT2_15HIP_vector_typeIjLj3EESC_SC_jSC_SC_SC_SC_SC_SC_iiiiiiiiiiiDpT3_.num_named_barrier, 0
	.set _ZL19k_bin_bcast_unravelIXadL_ZL6op_subffEE6__halfffJPKfEEvPKT0_PKT1_PT2_15HIP_vector_typeIjLj3EESC_SC_jSC_SC_SC_SC_SC_SC_iiiiiiiiiiiDpT3_.private_seg_size, 0
	.set _ZL19k_bin_bcast_unravelIXadL_ZL6op_subffEE6__halfffJPKfEEvPKT0_PKT1_PT2_15HIP_vector_typeIjLj3EESC_SC_jSC_SC_SC_SC_SC_SC_iiiiiiiiiiiDpT3_.uses_vcc, 1
	.set _ZL19k_bin_bcast_unravelIXadL_ZL6op_subffEE6__halfffJPKfEEvPKT0_PKT1_PT2_15HIP_vector_typeIjLj3EESC_SC_jSC_SC_SC_SC_SC_SC_iiiiiiiiiiiDpT3_.uses_flat_scratch, 0
	.set _ZL19k_bin_bcast_unravelIXadL_ZL6op_subffEE6__halfffJPKfEEvPKT0_PKT1_PT2_15HIP_vector_typeIjLj3EESC_SC_jSC_SC_SC_SC_SC_SC_iiiiiiiiiiiDpT3_.has_dyn_sized_stack, 0
	.set _ZL19k_bin_bcast_unravelIXadL_ZL6op_subffEE6__halfffJPKfEEvPKT0_PKT1_PT2_15HIP_vector_typeIjLj3EESC_SC_jSC_SC_SC_SC_SC_SC_iiiiiiiiiiiDpT3_.has_recursion, 0
	.set _ZL19k_bin_bcast_unravelIXadL_ZL6op_subffEE6__halfffJPKfEEvPKT0_PKT1_PT2_15HIP_vector_typeIjLj3EESC_SC_jSC_SC_SC_SC_SC_SC_iiiiiiiiiiiDpT3_.has_indirect_call, 0
	.section	.AMDGPU.csdata,"",@progbits
; Kernel info:
; codeLenInByte = 664
; TotalNumSgprs: 32
; NumVgprs: 11
; ScratchSize: 0
; MemoryBound: 0
; FloatMode: 240
; IeeeMode: 1
; LDSByteSize: 0 bytes/workgroup (compile time only)
; SGPRBlocks: 3
; VGPRBlocks: 2
; NumSGPRsForWavesPerEU: 32
; NumVGPRsForWavesPerEU: 11
; Occupancy: 10
; WaveLimiterHint : 1
; COMPUTE_PGM_RSRC2:SCRATCH_EN: 0
; COMPUTE_PGM_RSRC2:USER_SGPR: 6
; COMPUTE_PGM_RSRC2:TRAP_HANDLER: 0
; COMPUTE_PGM_RSRC2:TGID_X_EN: 1
; COMPUTE_PGM_RSRC2:TGID_Y_EN: 0
; COMPUTE_PGM_RSRC2:TGID_Z_EN: 0
; COMPUTE_PGM_RSRC2:TIDIG_COMP_CNT: 0
	.section	.text._ZL11k_bin_bcastIXadL_ZL6op_subffEE6__halfffJPKfEEvPKT0_PKT1_PT2_iii15HIP_vector_typeIjLj3EESC_SC_SC_SC_iiiiiiiiiiiDpT3_,"axG",@progbits,_ZL11k_bin_bcastIXadL_ZL6op_subffEE6__halfffJPKfEEvPKT0_PKT1_PT2_iii15HIP_vector_typeIjLj3EESC_SC_SC_SC_iiiiiiiiiiiDpT3_,comdat
	.globl	_ZL11k_bin_bcastIXadL_ZL6op_subffEE6__halfffJPKfEEvPKT0_PKT1_PT2_iii15HIP_vector_typeIjLj3EESC_SC_SC_SC_iiiiiiiiiiiDpT3_ ; -- Begin function _ZL11k_bin_bcastIXadL_ZL6op_subffEE6__halfffJPKfEEvPKT0_PKT1_PT2_iii15HIP_vector_typeIjLj3EESC_SC_SC_SC_iiiiiiiiiiiDpT3_
	.p2align	8
	.type	_ZL11k_bin_bcastIXadL_ZL6op_subffEE6__halfffJPKfEEvPKT0_PKT1_PT2_iii15HIP_vector_typeIjLj3EESC_SC_SC_SC_iiiiiiiiiiiDpT3_,@function
_ZL11k_bin_bcastIXadL_ZL6op_subffEE6__halfffJPKfEEvPKT0_PKT1_PT2_iii15HIP_vector_typeIjLj3EESC_SC_SC_SC_iiiiiiiiiiiDpT3_: ; @_ZL11k_bin_bcastIXadL_ZL6op_subffEE6__halfffJPKfEEvPKT0_PKT1_PT2_iii15HIP_vector_typeIjLj3EESC_SC_SC_SC_iiiiiiiiiiiDpT3_
; %bb.0:
	s_load_dwordx2 s[0:1], s[4:5], 0xa4
	s_load_dwordx8 s[12:19], s[4:5], 0x18
	s_add_u32 s2, s4, 0x98
	s_addc_u32 s3, s5, 0
	s_waitcnt lgkmcnt(0)
	s_and_b32 s1, s1, 0xffff
	s_mul_i32 s8, s8, s1
	v_add_u32_e32 v2, s8, v2
	v_mul_hi_u32 v3, v2, s15
	s_lshr_b32 s1, s0, 16
	s_and_b32 s8, s0, 0xffff
	s_mul_i32 s6, s6, s8
	v_add_u32_e32 v3, v2, v3
	v_lshrrev_b32_e32 v7, s16, v3
	v_mul_lo_u32 v4, v7, s17
	s_mul_i32 s7, s7, s1
	v_add_u32_e32 v0, s6, v0
	v_add_u32_e32 v3, s7, v1
	v_cmp_gt_u32_e32 vcc, s12, v0
	v_cmp_gt_u32_e64 s[0:1], s13, v3
	v_sub_u32_e32 v4, v2, v4
	s_and_b64 s[0:1], vcc, s[0:1]
	v_cmp_gt_u32_e32 vcc, s14, v7
	s_and_b64 s[0:1], s[0:1], vcc
	v_cmp_gt_u32_e32 vcc, s17, v4
	s_and_b64 s[0:1], s[0:1], vcc
	s_and_saveexec_b64 s[6:7], s[0:1]
	s_cbranch_execz .LBB23_6
; %bb.1:
	v_cmp_gt_i32_e32 vcc, s12, v0
	s_and_b64 exec, exec, vcc
	s_cbranch_execz .LBB23_6
; %bb.2:
	s_load_dwordx8 s[20:27], s[4:5], 0x60
	s_load_dword s9, s[2:3], 0x0
	s_load_dwordx2 s[6:7], s[4:5], 0x0
	s_load_dwordx8 s[36:43], s[4:5], 0x3c
	s_load_dword s13, s[4:5], 0x38
	s_load_dwordx2 s[10:11], s[4:5], 0x10
	s_nop 0
	s_load_dwordx4 s[0:3], s[4:5], 0x80
	s_load_dwordx2 s[14:15], s[4:5], 0x90
	s_waitcnt lgkmcnt(0)
	v_mul_lo_u32 v8, v4, s22
	v_mul_lo_u32 v9, v7, s21
	;; [unrolled: 1-line block ×4, first 2 shown]
	v_mul_hi_u32 v11, s42, v4
	s_load_dword s3, s[4:5], 0x5c
	v_add3_u32 v8, v9, v10, v8
	v_mul_hi_u32 v10, s39, v7
	v_add_u32_e32 v11, v4, v11
	v_mul_lo_u32 v1, v4, s26
	v_mul_lo_u32 v6, v3, s24
	v_add_u32_e32 v10, v7, v10
	v_lshrrev_b32_e32 v10, s40, v10
	v_mul_lo_u32 v10, v10, s41
	v_lshrrev_b32_e32 v11, s43, v11
	s_waitcnt lgkmcnt(0)
	v_mul_lo_u32 v11, v11, s3
	v_mov_b32_e32 v2, 0
	v_sub_u32_e32 v7, v7, v10
	v_mul_hi_u32 v10, s36, v3
	v_add3_u32 v1, v5, v6, v1
	v_lshlrev_b64 v[5:6], 1, v[1:2]
	v_sub_u32_e32 v4, v4, v11
	v_add_u32_e32 v10, v3, v10
	v_lshrrev_b32_e32 v10, s37, v10
	v_mul_lo_u32 v10, v10, s38
	v_mov_b32_e32 v9, v2
	v_mul_lo_u32 v12, v7, s1
	v_mul_lo_u32 v4, v4, s2
	v_sub_u32_e32 v3, v3, v10
	v_mul_lo_u32 v3, v3, s0
	v_mov_b32_e32 v1, s7
	v_add_co_u32_e32 v5, vcc, s6, v5
	v_lshlrev_b64 v[8:9], 2, v[8:9]
	v_addc_co_u32_e32 v6, vcc, v1, v6, vcc
	v_mov_b32_e32 v1, s11
	v_add_co_u32_e32 v7, vcc, s10, v8
	v_addc_co_u32_e32 v8, vcc, v1, v9, vcc
	v_add3_u32 v1, v12, v4, v3
	v_lshlrev_b64 v[3:4], 2, v[1:2]
	s_cmp_lg_u64 s[6:7], 0
	v_add_co_u32_e32 v9, vcc, s14, v3
	v_mul_lo_u32 v3, s23, v0
	s_cselect_b64 s[0:1], -1, 0
	v_mov_b32_e32 v1, s15
	v_addc_co_u32_e32 v10, vcc, v1, v4, vcc
	s_mul_i32 s6, s9, s8
	v_cndmask_b32_e64 v1, 0, 1, s[0:1]
	s_mov_b64 s[4:5], 0
	s_mul_i32 s7, s6, s23
	s_sub_i32 s8, 0, s13
	v_cmp_ne_u32_e64 s[0:1], 1, v1
	s_branch .LBB23_4
.LBB23_3:                               ;   in Loop: Header=BB23_4 Depth=1
	v_mul_hi_u32 v1, s18, v0
	v_add_u32_e32 v3, s7, v3
	v_add_u32_e32 v1, v0, v1
	v_lshrrev_b32_e32 v1, s19, v1
	v_mad_u64_u32 v[11:12], s[2:3], s8, v1, v[0:1]
	v_mul_lo_u32 v1, v11, s27
	v_lshlrev_b64 v[11:12], 2, v[1:2]
	v_ashrrev_i32_e32 v1, 31, v0
	v_add_co_u32_e32 v11, vcc, v9, v11
	v_addc_co_u32_e32 v12, vcc, v10, v12, vcc
	global_load_dword v13, v[11:12], off
	v_lshlrev_b64 v[11:12], 2, v[0:1]
	v_add_u32_e32 v0, s6, v0
	v_cmp_le_i32_e32 vcc, s12, v0
	v_add_co_u32_e64 v11, s[2:3], v7, v11
	v_addc_co_u32_e64 v12, s[2:3], v8, v12, s[2:3]
	s_or_b64 s[4:5], vcc, s[4:5]
	s_waitcnt vmcnt(0)
	v_sub_f32_e32 v1, v4, v13
	global_store_dword v[11:12], v1, off
	s_andn2_b64 exec, exec, s[4:5]
	s_cbranch_execz .LBB23_6
.LBB23_4:                               ; =>This Inner Loop Header: Depth=1
	s_and_b64 vcc, exec, s[0:1]
	v_mov_b32_e32 v4, 0
	s_cbranch_vccnz .LBB23_3
; %bb.5:                                ;   in Loop: Header=BB23_4 Depth=1
	v_ashrrev_i32_e32 v4, 31, v3
	v_lshlrev_b64 v[11:12], 1, v[3:4]
	v_add_co_u32_e32 v11, vcc, v5, v11
	v_addc_co_u32_e32 v12, vcc, v6, v12, vcc
	global_load_ushort v1, v[11:12], off
	s_waitcnt vmcnt(0)
	v_cvt_f32_f16_e32 v4, v1
	s_branch .LBB23_3
.LBB23_6:
	s_endpgm
	.section	.rodata,"a",@progbits
	.p2align	6, 0x0
	.amdhsa_kernel _ZL11k_bin_bcastIXadL_ZL6op_subffEE6__halfffJPKfEEvPKT0_PKT1_PT2_iii15HIP_vector_typeIjLj3EESC_SC_SC_SC_iiiiiiiiiiiDpT3_
		.amdhsa_group_segment_fixed_size 0
		.amdhsa_private_segment_fixed_size 0
		.amdhsa_kernarg_size 408
		.amdhsa_user_sgpr_count 6
		.amdhsa_user_sgpr_private_segment_buffer 1
		.amdhsa_user_sgpr_dispatch_ptr 0
		.amdhsa_user_sgpr_queue_ptr 0
		.amdhsa_user_sgpr_kernarg_segment_ptr 1
		.amdhsa_user_sgpr_dispatch_id 0
		.amdhsa_user_sgpr_flat_scratch_init 0
		.amdhsa_user_sgpr_private_segment_size 0
		.amdhsa_uses_dynamic_stack 0
		.amdhsa_system_sgpr_private_segment_wavefront_offset 0
		.amdhsa_system_sgpr_workgroup_id_x 1
		.amdhsa_system_sgpr_workgroup_id_y 1
		.amdhsa_system_sgpr_workgroup_id_z 1
		.amdhsa_system_sgpr_workgroup_info 0
		.amdhsa_system_vgpr_workitem_id 2
		.amdhsa_next_free_vgpr 14
		.amdhsa_next_free_sgpr 44
		.amdhsa_reserve_vcc 1
		.amdhsa_reserve_flat_scratch 0
		.amdhsa_float_round_mode_32 0
		.amdhsa_float_round_mode_16_64 0
		.amdhsa_float_denorm_mode_32 3
		.amdhsa_float_denorm_mode_16_64 3
		.amdhsa_dx10_clamp 1
		.amdhsa_ieee_mode 1
		.amdhsa_fp16_overflow 0
		.amdhsa_exception_fp_ieee_invalid_op 0
		.amdhsa_exception_fp_denorm_src 0
		.amdhsa_exception_fp_ieee_div_zero 0
		.amdhsa_exception_fp_ieee_overflow 0
		.amdhsa_exception_fp_ieee_underflow 0
		.amdhsa_exception_fp_ieee_inexact 0
		.amdhsa_exception_int_div_zero 0
	.end_amdhsa_kernel
	.section	.text._ZL11k_bin_bcastIXadL_ZL6op_subffEE6__halfffJPKfEEvPKT0_PKT1_PT2_iii15HIP_vector_typeIjLj3EESC_SC_SC_SC_iiiiiiiiiiiDpT3_,"axG",@progbits,_ZL11k_bin_bcastIXadL_ZL6op_subffEE6__halfffJPKfEEvPKT0_PKT1_PT2_iii15HIP_vector_typeIjLj3EESC_SC_SC_SC_iiiiiiiiiiiDpT3_,comdat
.Lfunc_end23:
	.size	_ZL11k_bin_bcastIXadL_ZL6op_subffEE6__halfffJPKfEEvPKT0_PKT1_PT2_iii15HIP_vector_typeIjLj3EESC_SC_SC_SC_iiiiiiiiiiiDpT3_, .Lfunc_end23-_ZL11k_bin_bcastIXadL_ZL6op_subffEE6__halfffJPKfEEvPKT0_PKT1_PT2_iii15HIP_vector_typeIjLj3EESC_SC_SC_SC_iiiiiiiiiiiDpT3_
                                        ; -- End function
	.set _ZL11k_bin_bcastIXadL_ZL6op_subffEE6__halfffJPKfEEvPKT0_PKT1_PT2_iii15HIP_vector_typeIjLj3EESC_SC_SC_SC_iiiiiiiiiiiDpT3_.num_vgpr, 14
	.set _ZL11k_bin_bcastIXadL_ZL6op_subffEE6__halfffJPKfEEvPKT0_PKT1_PT2_iii15HIP_vector_typeIjLj3EESC_SC_SC_SC_iiiiiiiiiiiDpT3_.num_agpr, 0
	.set _ZL11k_bin_bcastIXadL_ZL6op_subffEE6__halfffJPKfEEvPKT0_PKT1_PT2_iii15HIP_vector_typeIjLj3EESC_SC_SC_SC_iiiiiiiiiiiDpT3_.numbered_sgpr, 44
	.set _ZL11k_bin_bcastIXadL_ZL6op_subffEE6__halfffJPKfEEvPKT0_PKT1_PT2_iii15HIP_vector_typeIjLj3EESC_SC_SC_SC_iiiiiiiiiiiDpT3_.num_named_barrier, 0
	.set _ZL11k_bin_bcastIXadL_ZL6op_subffEE6__halfffJPKfEEvPKT0_PKT1_PT2_iii15HIP_vector_typeIjLj3EESC_SC_SC_SC_iiiiiiiiiiiDpT3_.private_seg_size, 0
	.set _ZL11k_bin_bcastIXadL_ZL6op_subffEE6__halfffJPKfEEvPKT0_PKT1_PT2_iii15HIP_vector_typeIjLj3EESC_SC_SC_SC_iiiiiiiiiiiDpT3_.uses_vcc, 1
	.set _ZL11k_bin_bcastIXadL_ZL6op_subffEE6__halfffJPKfEEvPKT0_PKT1_PT2_iii15HIP_vector_typeIjLj3EESC_SC_SC_SC_iiiiiiiiiiiDpT3_.uses_flat_scratch, 0
	.set _ZL11k_bin_bcastIXadL_ZL6op_subffEE6__halfffJPKfEEvPKT0_PKT1_PT2_iii15HIP_vector_typeIjLj3EESC_SC_SC_SC_iiiiiiiiiiiDpT3_.has_dyn_sized_stack, 0
	.set _ZL11k_bin_bcastIXadL_ZL6op_subffEE6__halfffJPKfEEvPKT0_PKT1_PT2_iii15HIP_vector_typeIjLj3EESC_SC_SC_SC_iiiiiiiiiiiDpT3_.has_recursion, 0
	.set _ZL11k_bin_bcastIXadL_ZL6op_subffEE6__halfffJPKfEEvPKT0_PKT1_PT2_iii15HIP_vector_typeIjLj3EESC_SC_SC_SC_iiiiiiiiiiiDpT3_.has_indirect_call, 0
	.section	.AMDGPU.csdata,"",@progbits
; Kernel info:
; codeLenInByte = 720
; TotalNumSgprs: 48
; NumVgprs: 14
; ScratchSize: 0
; MemoryBound: 0
; FloatMode: 240
; IeeeMode: 1
; LDSByteSize: 0 bytes/workgroup (compile time only)
; SGPRBlocks: 5
; VGPRBlocks: 3
; NumSGPRsForWavesPerEU: 48
; NumVGPRsForWavesPerEU: 14
; Occupancy: 10
; WaveLimiterHint : 1
; COMPUTE_PGM_RSRC2:SCRATCH_EN: 0
; COMPUTE_PGM_RSRC2:USER_SGPR: 6
; COMPUTE_PGM_RSRC2:TRAP_HANDLER: 0
; COMPUTE_PGM_RSRC2:TGID_X_EN: 1
; COMPUTE_PGM_RSRC2:TGID_Y_EN: 1
; COMPUTE_PGM_RSRC2:TGID_Z_EN: 1
; COMPUTE_PGM_RSRC2:TIDIG_COMP_CNT: 2
	.section	.text._ZL19k_bin_bcast_unravelIXadL_ZL6op_mulffEEfffJPKfEEvPKT0_PKT1_PT2_15HIP_vector_typeIjLj3EESB_SB_jSB_SB_SB_SB_SB_SB_iiiiiiiiiiiDpT3_,"axG",@progbits,_ZL19k_bin_bcast_unravelIXadL_ZL6op_mulffEEfffJPKfEEvPKT0_PKT1_PT2_15HIP_vector_typeIjLj3EESB_SB_jSB_SB_SB_SB_SB_SB_iiiiiiiiiiiDpT3_,comdat
	.globl	_ZL19k_bin_bcast_unravelIXadL_ZL6op_mulffEEfffJPKfEEvPKT0_PKT1_PT2_15HIP_vector_typeIjLj3EESB_SB_jSB_SB_SB_SB_SB_SB_iiiiiiiiiiiDpT3_ ; -- Begin function _ZL19k_bin_bcast_unravelIXadL_ZL6op_mulffEEfffJPKfEEvPKT0_PKT1_PT2_15HIP_vector_typeIjLj3EESB_SB_jSB_SB_SB_SB_SB_SB_iiiiiiiiiiiDpT3_
	.p2align	8
	.type	_ZL19k_bin_bcast_unravelIXadL_ZL6op_mulffEEfffJPKfEEvPKT0_PKT1_PT2_15HIP_vector_typeIjLj3EESB_SB_jSB_SB_SB_SB_SB_SB_iiiiiiiiiiiDpT3_,@function
_ZL19k_bin_bcast_unravelIXadL_ZL6op_mulffEEfffJPKfEEvPKT0_PKT1_PT2_15HIP_vector_typeIjLj3EESB_SB_jSB_SB_SB_SB_SB_SB_iiiiiiiiiiiDpT3_: ; @_ZL19k_bin_bcast_unravelIXadL_ZL6op_mulffEEfffJPKfEEvPKT0_PKT1_PT2_15HIP_vector_typeIjLj3EESB_SB_jSB_SB_SB_SB_SB_SB_iiiiiiiiiiiDpT3_
; %bb.0:
	s_load_dword s0, s[4:5], 0xcc
	s_load_dwordx8 s[8:15], s[4:5], 0x38
	s_waitcnt lgkmcnt(0)
	s_and_b32 s0, s0, 0xffff
	s_mul_i32 s6, s6, s0
	v_add_u32_e32 v0, s6, v0
	v_mul_hi_u32 v1, v0, s10
	s_load_dwordx4 s[0:3], s[4:5], 0x18
	s_waitcnt lgkmcnt(0)
	s_load_dword s3, s[4:5], 0x2c
	v_add_u32_e32 v1, v0, v1
	v_lshrrev_b32_e32 v1, s11, v1
	v_mul_lo_u32 v2, v1, s12
	v_sub_u32_e32 v0, v0, v2
	v_mul_hi_u32 v2, v0, s13
	v_add_u32_e32 v2, v0, v2
	v_lshrrev_b32_e32 v3, s14, v2
	v_mul_lo_u32 v2, v3, s15
	v_cmp_gt_u32_e32 vcc, s8, v3
	v_sub_u32_e32 v0, v0, v2
	v_mul_hi_u32 v2, v0, s0
	v_add_u32_e32 v2, v0, v2
	v_lshrrev_b32_e32 v4, s1, v2
	v_mul_lo_u32 v2, v4, s2
	s_waitcnt lgkmcnt(0)
	v_cmp_gt_u32_e64 s[0:1], s3, v4
	v_sub_u32_e32 v0, v0, v2
	v_cmp_gt_u32_e64 s[2:3], s2, v0
	s_and_b64 s[0:1], s[2:3], s[0:1]
	s_and_b64 s[0:1], s[0:1], vcc
	v_cmp_gt_u32_e32 vcc, s9, v1
	s_and_b64 s[0:1], vcc, s[0:1]
	s_and_saveexec_b64 s[2:3], s[0:1]
	s_cbranch_execz .LBB24_4
; %bb.1:
	s_load_dwordx2 s[6:7], s[4:5], 0x0
	s_load_dwordx4 s[0:3], s[4:5], 0xa8
	s_load_dwordx8 s[8:15], s[4:5], 0x88
	s_load_dwordx4 s[24:27], s[4:5], 0x78
	s_load_dwordx8 s[16:23], s[4:5], 0x58
	v_mov_b32_e32 v2, 0
	s_waitcnt lgkmcnt(0)
	s_cmp_eq_u64 s[6:7], 0
	v_mov_b32_e32 v5, 0
	s_cbranch_scc1 .LBB24_3
; %bb.2:
	v_mul_lo_u32 v5, v1, s14
	v_mul_lo_u32 v7, v3, s13
	;; [unrolled: 1-line block ×3, first 2 shown]
	v_mov_b32_e32 v6, 0
	v_mov_b32_e32 v9, s7
	v_add3_u32 v5, v7, v5, v8
	v_lshlrev_b64 v[7:8], 2, v[5:6]
	v_mul_lo_u32 v5, v0, s11
	v_add_co_u32_e32 v7, vcc, s6, v7
	v_addc_co_u32_e32 v8, vcc, v9, v8, vcc
	v_lshlrev_b64 v[5:6], 2, v[5:6]
	v_add_co_u32_e32 v5, vcc, v7, v5
	v_addc_co_u32_e32 v6, vcc, v8, v6, vcc
	global_load_dword v5, v[5:6], off
.LBB24_3:
	v_mul_hi_u32 v6, s19, v4
	v_mul_hi_u32 v7, s22, v3
	;; [unrolled: 1-line block ×4, first 2 shown]
	v_add_u32_e32 v6, v4, v6
	v_add_u32_e32 v7, v3, v7
	;; [unrolled: 1-line block ×3, first 2 shown]
	v_lshrrev_b32_e32 v6, s20, v6
	v_lshrrev_b32_e32 v7, s23, v7
	;; [unrolled: 1-line block ×3, first 2 shown]
	v_mul_lo_u32 v6, v6, s21
	v_mul_lo_u32 v7, v7, s24
	;; [unrolled: 1-line block ×3, first 2 shown]
	v_add_u32_e32 v9, v0, v9
	v_lshrrev_b32_e32 v9, s17, v9
	v_mul_lo_u32 v9, v9, s18
	v_sub_u32_e32 v6, v4, v6
	v_sub_u32_e32 v7, v3, v7
	;; [unrolled: 1-line block ×3, first 2 shown]
	v_mul_lo_u32 v8, v8, s2
	v_mul_lo_u32 v7, v7, s1
	;; [unrolled: 1-line block ×3, first 2 shown]
	v_sub_u32_e32 v6, v0, v9
	v_mul_lo_u32 v6, v6, s15
	s_load_dwordx2 s[0:1], s[4:5], 0xb8
	v_add3_u32 v8, v7, v8, v10
	v_ashrrev_i32_e32 v9, 31, v8
	v_lshlrev_b64 v[8:9], 2, v[8:9]
	v_ashrrev_i32_e32 v7, 31, v6
	s_waitcnt lgkmcnt(0)
	v_mov_b32_e32 v10, s1
	v_add_co_u32_e32 v8, vcc, s0, v8
	v_lshlrev_b64 v[6:7], 2, v[6:7]
	v_addc_co_u32_e32 v9, vcc, v10, v9, vcc
	v_add_co_u32_e32 v6, vcc, v8, v6
	v_addc_co_u32_e32 v7, vcc, v9, v7, vcc
	global_load_dword v6, v[6:7], off
	v_mul_lo_u32 v7, v1, s10
	v_mul_lo_u32 v8, v3, s9
	;; [unrolled: 1-line block ×3, first 2 shown]
	s_load_dwordx2 s[0:1], s[4:5], 0x10
	v_mov_b32_e32 v1, v2
	v_lshlrev_b64 v[3:4], 2, v[0:1]
	v_add3_u32 v1, v8, v7, v9
	v_lshlrev_b64 v[0:1], 2, v[1:2]
	s_waitcnt lgkmcnt(0)
	v_mov_b32_e32 v2, s1
	v_add_co_u32_e32 v0, vcc, s0, v0
	v_addc_co_u32_e32 v1, vcc, v2, v1, vcc
	v_add_co_u32_e32 v0, vcc, v0, v3
	v_addc_co_u32_e32 v1, vcc, v1, v4, vcc
	s_waitcnt vmcnt(0)
	v_mul_f32_e32 v2, v5, v6
	global_store_dword v[0:1], v2, off
.LBB24_4:
	s_endpgm
	.section	.rodata,"a",@progbits
	.p2align	6, 0x0
	.amdhsa_kernel _ZL19k_bin_bcast_unravelIXadL_ZL6op_mulffEEfffJPKfEEvPKT0_PKT1_PT2_15HIP_vector_typeIjLj3EESB_SB_jSB_SB_SB_SB_SB_SB_iiiiiiiiiiiDpT3_
		.amdhsa_group_segment_fixed_size 0
		.amdhsa_private_segment_fixed_size 0
		.amdhsa_kernarg_size 448
		.amdhsa_user_sgpr_count 6
		.amdhsa_user_sgpr_private_segment_buffer 1
		.amdhsa_user_sgpr_dispatch_ptr 0
		.amdhsa_user_sgpr_queue_ptr 0
		.amdhsa_user_sgpr_kernarg_segment_ptr 1
		.amdhsa_user_sgpr_dispatch_id 0
		.amdhsa_user_sgpr_flat_scratch_init 0
		.amdhsa_user_sgpr_private_segment_size 0
		.amdhsa_uses_dynamic_stack 0
		.amdhsa_system_sgpr_private_segment_wavefront_offset 0
		.amdhsa_system_sgpr_workgroup_id_x 1
		.amdhsa_system_sgpr_workgroup_id_y 0
		.amdhsa_system_sgpr_workgroup_id_z 0
		.amdhsa_system_sgpr_workgroup_info 0
		.amdhsa_system_vgpr_workitem_id 0
		.amdhsa_next_free_vgpr 11
		.amdhsa_next_free_sgpr 28
		.amdhsa_reserve_vcc 1
		.amdhsa_reserve_flat_scratch 0
		.amdhsa_float_round_mode_32 0
		.amdhsa_float_round_mode_16_64 0
		.amdhsa_float_denorm_mode_32 3
		.amdhsa_float_denorm_mode_16_64 3
		.amdhsa_dx10_clamp 1
		.amdhsa_ieee_mode 1
		.amdhsa_fp16_overflow 0
		.amdhsa_exception_fp_ieee_invalid_op 0
		.amdhsa_exception_fp_denorm_src 0
		.amdhsa_exception_fp_ieee_div_zero 0
		.amdhsa_exception_fp_ieee_overflow 0
		.amdhsa_exception_fp_ieee_underflow 0
		.amdhsa_exception_fp_ieee_inexact 0
		.amdhsa_exception_int_div_zero 0
	.end_amdhsa_kernel
	.section	.text._ZL19k_bin_bcast_unravelIXadL_ZL6op_mulffEEfffJPKfEEvPKT0_PKT1_PT2_15HIP_vector_typeIjLj3EESB_SB_jSB_SB_SB_SB_SB_SB_iiiiiiiiiiiDpT3_,"axG",@progbits,_ZL19k_bin_bcast_unravelIXadL_ZL6op_mulffEEfffJPKfEEvPKT0_PKT1_PT2_15HIP_vector_typeIjLj3EESB_SB_jSB_SB_SB_SB_SB_SB_iiiiiiiiiiiDpT3_,comdat
.Lfunc_end24:
	.size	_ZL19k_bin_bcast_unravelIXadL_ZL6op_mulffEEfffJPKfEEvPKT0_PKT1_PT2_15HIP_vector_typeIjLj3EESB_SB_jSB_SB_SB_SB_SB_SB_iiiiiiiiiiiDpT3_, .Lfunc_end24-_ZL19k_bin_bcast_unravelIXadL_ZL6op_mulffEEfffJPKfEEvPKT0_PKT1_PT2_15HIP_vector_typeIjLj3EESB_SB_jSB_SB_SB_SB_SB_SB_iiiiiiiiiiiDpT3_
                                        ; -- End function
	.set _ZL19k_bin_bcast_unravelIXadL_ZL6op_mulffEEfffJPKfEEvPKT0_PKT1_PT2_15HIP_vector_typeIjLj3EESB_SB_jSB_SB_SB_SB_SB_SB_iiiiiiiiiiiDpT3_.num_vgpr, 11
	.set _ZL19k_bin_bcast_unravelIXadL_ZL6op_mulffEEfffJPKfEEvPKT0_PKT1_PT2_15HIP_vector_typeIjLj3EESB_SB_jSB_SB_SB_SB_SB_SB_iiiiiiiiiiiDpT3_.num_agpr, 0
	.set _ZL19k_bin_bcast_unravelIXadL_ZL6op_mulffEEfffJPKfEEvPKT0_PKT1_PT2_15HIP_vector_typeIjLj3EESB_SB_jSB_SB_SB_SB_SB_SB_iiiiiiiiiiiDpT3_.numbered_sgpr, 28
	.set _ZL19k_bin_bcast_unravelIXadL_ZL6op_mulffEEfffJPKfEEvPKT0_PKT1_PT2_15HIP_vector_typeIjLj3EESB_SB_jSB_SB_SB_SB_SB_SB_iiiiiiiiiiiDpT3_.num_named_barrier, 0
	.set _ZL19k_bin_bcast_unravelIXadL_ZL6op_mulffEEfffJPKfEEvPKT0_PKT1_PT2_15HIP_vector_typeIjLj3EESB_SB_jSB_SB_SB_SB_SB_SB_iiiiiiiiiiiDpT3_.private_seg_size, 0
	.set _ZL19k_bin_bcast_unravelIXadL_ZL6op_mulffEEfffJPKfEEvPKT0_PKT1_PT2_15HIP_vector_typeIjLj3EESB_SB_jSB_SB_SB_SB_SB_SB_iiiiiiiiiiiDpT3_.uses_vcc, 1
	.set _ZL19k_bin_bcast_unravelIXadL_ZL6op_mulffEEfffJPKfEEvPKT0_PKT1_PT2_15HIP_vector_typeIjLj3EESB_SB_jSB_SB_SB_SB_SB_SB_iiiiiiiiiiiDpT3_.uses_flat_scratch, 0
	.set _ZL19k_bin_bcast_unravelIXadL_ZL6op_mulffEEfffJPKfEEvPKT0_PKT1_PT2_15HIP_vector_typeIjLj3EESB_SB_jSB_SB_SB_SB_SB_SB_iiiiiiiiiiiDpT3_.has_dyn_sized_stack, 0
	.set _ZL19k_bin_bcast_unravelIXadL_ZL6op_mulffEEfffJPKfEEvPKT0_PKT1_PT2_15HIP_vector_typeIjLj3EESB_SB_jSB_SB_SB_SB_SB_SB_iiiiiiiiiiiDpT3_.has_recursion, 0
	.set _ZL19k_bin_bcast_unravelIXadL_ZL6op_mulffEEfffJPKfEEvPKT0_PKT1_PT2_15HIP_vector_typeIjLj3EESB_SB_jSB_SB_SB_SB_SB_SB_iiiiiiiiiiiDpT3_.has_indirect_call, 0
	.section	.AMDGPU.csdata,"",@progbits
; Kernel info:
; codeLenInByte = 656
; TotalNumSgprs: 32
; NumVgprs: 11
; ScratchSize: 0
; MemoryBound: 0
; FloatMode: 240
; IeeeMode: 1
; LDSByteSize: 0 bytes/workgroup (compile time only)
; SGPRBlocks: 3
; VGPRBlocks: 2
; NumSGPRsForWavesPerEU: 32
; NumVGPRsForWavesPerEU: 11
; Occupancy: 10
; WaveLimiterHint : 1
; COMPUTE_PGM_RSRC2:SCRATCH_EN: 0
; COMPUTE_PGM_RSRC2:USER_SGPR: 6
; COMPUTE_PGM_RSRC2:TRAP_HANDLER: 0
; COMPUTE_PGM_RSRC2:TGID_X_EN: 1
; COMPUTE_PGM_RSRC2:TGID_Y_EN: 0
; COMPUTE_PGM_RSRC2:TGID_Z_EN: 0
; COMPUTE_PGM_RSRC2:TIDIG_COMP_CNT: 0
	.section	.text._ZL11k_bin_bcastIXadL_ZL6op_mulffEEfffJPKfEEvPKT0_PKT1_PT2_iii15HIP_vector_typeIjLj3EESB_SB_SB_SB_iiiiiiiiiiiDpT3_,"axG",@progbits,_ZL11k_bin_bcastIXadL_ZL6op_mulffEEfffJPKfEEvPKT0_PKT1_PT2_iii15HIP_vector_typeIjLj3EESB_SB_SB_SB_iiiiiiiiiiiDpT3_,comdat
	.globl	_ZL11k_bin_bcastIXadL_ZL6op_mulffEEfffJPKfEEvPKT0_PKT1_PT2_iii15HIP_vector_typeIjLj3EESB_SB_SB_SB_iiiiiiiiiiiDpT3_ ; -- Begin function _ZL11k_bin_bcastIXadL_ZL6op_mulffEEfffJPKfEEvPKT0_PKT1_PT2_iii15HIP_vector_typeIjLj3EESB_SB_SB_SB_iiiiiiiiiiiDpT3_
	.p2align	8
	.type	_ZL11k_bin_bcastIXadL_ZL6op_mulffEEfffJPKfEEvPKT0_PKT1_PT2_iii15HIP_vector_typeIjLj3EESB_SB_SB_SB_iiiiiiiiiiiDpT3_,@function
_ZL11k_bin_bcastIXadL_ZL6op_mulffEEfffJPKfEEvPKT0_PKT1_PT2_iii15HIP_vector_typeIjLj3EESB_SB_SB_SB_iiiiiiiiiiiDpT3_: ; @_ZL11k_bin_bcastIXadL_ZL6op_mulffEEfffJPKfEEvPKT0_PKT1_PT2_iii15HIP_vector_typeIjLj3EESB_SB_SB_SB_iiiiiiiiiiiDpT3_
; %bb.0:
	s_load_dwordx2 s[0:1], s[4:5], 0xa4
	s_load_dwordx8 s[12:19], s[4:5], 0x18
	s_add_u32 s2, s4, 0x98
	s_addc_u32 s3, s5, 0
	s_waitcnt lgkmcnt(0)
	s_and_b32 s1, s1, 0xffff
	s_mul_i32 s8, s8, s1
	v_add_u32_e32 v2, s8, v2
	v_mul_hi_u32 v3, v2, s15
	s_lshr_b32 s1, s0, 16
	s_and_b32 s8, s0, 0xffff
	s_mul_i32 s6, s6, s8
	v_add_u32_e32 v3, v2, v3
	v_lshrrev_b32_e32 v7, s16, v3
	v_mul_lo_u32 v4, v7, s17
	s_mul_i32 s7, s7, s1
	v_add_u32_e32 v0, s6, v0
	v_add_u32_e32 v3, s7, v1
	v_cmp_gt_u32_e32 vcc, s12, v0
	v_cmp_gt_u32_e64 s[0:1], s13, v3
	v_sub_u32_e32 v4, v2, v4
	s_and_b64 s[0:1], vcc, s[0:1]
	v_cmp_gt_u32_e32 vcc, s14, v7
	s_and_b64 s[0:1], s[0:1], vcc
	v_cmp_gt_u32_e32 vcc, s17, v4
	s_and_b64 s[0:1], s[0:1], vcc
	s_and_saveexec_b64 s[6:7], s[0:1]
	s_cbranch_execz .LBB25_6
; %bb.1:
	v_cmp_gt_i32_e32 vcc, s12, v0
	s_and_b64 exec, exec, vcc
	s_cbranch_execz .LBB25_6
; %bb.2:
	s_load_dwordx8 s[20:27], s[4:5], 0x60
	s_load_dword s9, s[2:3], 0x0
	s_load_dwordx2 s[6:7], s[4:5], 0x0
	s_load_dwordx8 s[36:43], s[4:5], 0x3c
	s_load_dword s13, s[4:5], 0x38
	s_load_dwordx2 s[10:11], s[4:5], 0x10
	s_nop 0
	s_load_dwordx4 s[0:3], s[4:5], 0x80
	s_load_dwordx2 s[14:15], s[4:5], 0x90
	s_waitcnt lgkmcnt(0)
	v_mul_lo_u32 v8, v4, s22
	v_mul_lo_u32 v9, v7, s21
	;; [unrolled: 1-line block ×4, first 2 shown]
	v_mul_hi_u32 v11, s42, v4
	s_load_dword s3, s[4:5], 0x5c
	v_add3_u32 v8, v9, v10, v8
	v_mul_hi_u32 v10, s39, v7
	v_add_u32_e32 v11, v4, v11
	v_mul_lo_u32 v1, v4, s26
	v_mul_lo_u32 v6, v3, s24
	v_add_u32_e32 v10, v7, v10
	v_lshrrev_b32_e32 v10, s40, v10
	v_mul_lo_u32 v10, v10, s41
	v_lshrrev_b32_e32 v11, s43, v11
	s_waitcnt lgkmcnt(0)
	v_mul_lo_u32 v11, v11, s3
	v_mov_b32_e32 v2, 0
	v_sub_u32_e32 v7, v7, v10
	v_mul_hi_u32 v10, s36, v3
	v_add3_u32 v1, v5, v6, v1
	v_lshlrev_b64 v[5:6], 2, v[1:2]
	v_sub_u32_e32 v4, v4, v11
	v_add_u32_e32 v10, v3, v10
	v_lshrrev_b32_e32 v10, s37, v10
	v_mul_lo_u32 v10, v10, s38
	v_mov_b32_e32 v9, v2
	v_mul_lo_u32 v12, v7, s1
	v_mul_lo_u32 v4, v4, s2
	v_sub_u32_e32 v3, v3, v10
	v_mul_lo_u32 v3, v3, s0
	v_mov_b32_e32 v1, s7
	v_add_co_u32_e32 v5, vcc, s6, v5
	v_lshlrev_b64 v[8:9], 2, v[8:9]
	v_addc_co_u32_e32 v6, vcc, v1, v6, vcc
	v_mov_b32_e32 v1, s11
	v_add_co_u32_e32 v7, vcc, s10, v8
	v_addc_co_u32_e32 v8, vcc, v1, v9, vcc
	v_add3_u32 v1, v12, v4, v3
	v_lshlrev_b64 v[3:4], 2, v[1:2]
	s_cmp_lg_u64 s[6:7], 0
	v_add_co_u32_e32 v9, vcc, s14, v3
	v_mul_lo_u32 v3, s23, v0
	s_cselect_b64 s[0:1], -1, 0
	v_mov_b32_e32 v1, s15
	v_addc_co_u32_e32 v10, vcc, v1, v4, vcc
	s_mul_i32 s6, s9, s8
	v_cndmask_b32_e64 v1, 0, 1, s[0:1]
	s_mov_b64 s[4:5], 0
	s_mul_i32 s7, s6, s23
	s_sub_i32 s8, 0, s13
	v_cmp_ne_u32_e64 s[0:1], 1, v1
	s_branch .LBB25_4
.LBB25_3:                               ;   in Loop: Header=BB25_4 Depth=1
	v_mul_hi_u32 v1, s18, v0
	v_add_u32_e32 v3, s7, v3
	v_add_u32_e32 v1, v0, v1
	v_lshrrev_b32_e32 v1, s19, v1
	v_mad_u64_u32 v[11:12], s[2:3], s8, v1, v[0:1]
	v_mul_lo_u32 v1, v11, s27
	v_lshlrev_b64 v[11:12], 2, v[1:2]
	v_ashrrev_i32_e32 v1, 31, v0
	v_add_co_u32_e32 v11, vcc, v9, v11
	v_addc_co_u32_e32 v12, vcc, v10, v12, vcc
	global_load_dword v13, v[11:12], off
	v_lshlrev_b64 v[11:12], 2, v[0:1]
	v_add_u32_e32 v0, s6, v0
	v_cmp_le_i32_e32 vcc, s12, v0
	v_add_co_u32_e64 v11, s[2:3], v7, v11
	v_addc_co_u32_e64 v12, s[2:3], v8, v12, s[2:3]
	s_or_b64 s[4:5], vcc, s[4:5]
	s_waitcnt vmcnt(0)
	v_mul_f32_e32 v1, v4, v13
	global_store_dword v[11:12], v1, off
	s_andn2_b64 exec, exec, s[4:5]
	s_cbranch_execz .LBB25_6
.LBB25_4:                               ; =>This Inner Loop Header: Depth=1
	s_and_b64 vcc, exec, s[0:1]
	v_mov_b32_e32 v4, 0
	s_cbranch_vccnz .LBB25_3
; %bb.5:                                ;   in Loop: Header=BB25_4 Depth=1
	v_ashrrev_i32_e32 v4, 31, v3
	v_lshlrev_b64 v[11:12], 2, v[3:4]
	v_add_co_u32_e32 v11, vcc, v5, v11
	v_addc_co_u32_e32 v12, vcc, v6, v12, vcc
	global_load_dword v4, v[11:12], off
	s_branch .LBB25_3
.LBB25_6:
	s_endpgm
	.section	.rodata,"a",@progbits
	.p2align	6, 0x0
	.amdhsa_kernel _ZL11k_bin_bcastIXadL_ZL6op_mulffEEfffJPKfEEvPKT0_PKT1_PT2_iii15HIP_vector_typeIjLj3EESB_SB_SB_SB_iiiiiiiiiiiDpT3_
		.amdhsa_group_segment_fixed_size 0
		.amdhsa_private_segment_fixed_size 0
		.amdhsa_kernarg_size 408
		.amdhsa_user_sgpr_count 6
		.amdhsa_user_sgpr_private_segment_buffer 1
		.amdhsa_user_sgpr_dispatch_ptr 0
		.amdhsa_user_sgpr_queue_ptr 0
		.amdhsa_user_sgpr_kernarg_segment_ptr 1
		.amdhsa_user_sgpr_dispatch_id 0
		.amdhsa_user_sgpr_flat_scratch_init 0
		.amdhsa_user_sgpr_private_segment_size 0
		.amdhsa_uses_dynamic_stack 0
		.amdhsa_system_sgpr_private_segment_wavefront_offset 0
		.amdhsa_system_sgpr_workgroup_id_x 1
		.amdhsa_system_sgpr_workgroup_id_y 1
		.amdhsa_system_sgpr_workgroup_id_z 1
		.amdhsa_system_sgpr_workgroup_info 0
		.amdhsa_system_vgpr_workitem_id 2
		.amdhsa_next_free_vgpr 14
		.amdhsa_next_free_sgpr 44
		.amdhsa_reserve_vcc 1
		.amdhsa_reserve_flat_scratch 0
		.amdhsa_float_round_mode_32 0
		.amdhsa_float_round_mode_16_64 0
		.amdhsa_float_denorm_mode_32 3
		.amdhsa_float_denorm_mode_16_64 3
		.amdhsa_dx10_clamp 1
		.amdhsa_ieee_mode 1
		.amdhsa_fp16_overflow 0
		.amdhsa_exception_fp_ieee_invalid_op 0
		.amdhsa_exception_fp_denorm_src 0
		.amdhsa_exception_fp_ieee_div_zero 0
		.amdhsa_exception_fp_ieee_overflow 0
		.amdhsa_exception_fp_ieee_underflow 0
		.amdhsa_exception_fp_ieee_inexact 0
		.amdhsa_exception_int_div_zero 0
	.end_amdhsa_kernel
	.section	.text._ZL11k_bin_bcastIXadL_ZL6op_mulffEEfffJPKfEEvPKT0_PKT1_PT2_iii15HIP_vector_typeIjLj3EESB_SB_SB_SB_iiiiiiiiiiiDpT3_,"axG",@progbits,_ZL11k_bin_bcastIXadL_ZL6op_mulffEEfffJPKfEEvPKT0_PKT1_PT2_iii15HIP_vector_typeIjLj3EESB_SB_SB_SB_iiiiiiiiiiiDpT3_,comdat
.Lfunc_end25:
	.size	_ZL11k_bin_bcastIXadL_ZL6op_mulffEEfffJPKfEEvPKT0_PKT1_PT2_iii15HIP_vector_typeIjLj3EESB_SB_SB_SB_iiiiiiiiiiiDpT3_, .Lfunc_end25-_ZL11k_bin_bcastIXadL_ZL6op_mulffEEfffJPKfEEvPKT0_PKT1_PT2_iii15HIP_vector_typeIjLj3EESB_SB_SB_SB_iiiiiiiiiiiDpT3_
                                        ; -- End function
	.set _ZL11k_bin_bcastIXadL_ZL6op_mulffEEfffJPKfEEvPKT0_PKT1_PT2_iii15HIP_vector_typeIjLj3EESB_SB_SB_SB_iiiiiiiiiiiDpT3_.num_vgpr, 14
	.set _ZL11k_bin_bcastIXadL_ZL6op_mulffEEfffJPKfEEvPKT0_PKT1_PT2_iii15HIP_vector_typeIjLj3EESB_SB_SB_SB_iiiiiiiiiiiDpT3_.num_agpr, 0
	.set _ZL11k_bin_bcastIXadL_ZL6op_mulffEEfffJPKfEEvPKT0_PKT1_PT2_iii15HIP_vector_typeIjLj3EESB_SB_SB_SB_iiiiiiiiiiiDpT3_.numbered_sgpr, 44
	.set _ZL11k_bin_bcastIXadL_ZL6op_mulffEEfffJPKfEEvPKT0_PKT1_PT2_iii15HIP_vector_typeIjLj3EESB_SB_SB_SB_iiiiiiiiiiiDpT3_.num_named_barrier, 0
	.set _ZL11k_bin_bcastIXadL_ZL6op_mulffEEfffJPKfEEvPKT0_PKT1_PT2_iii15HIP_vector_typeIjLj3EESB_SB_SB_SB_iiiiiiiiiiiDpT3_.private_seg_size, 0
	.set _ZL11k_bin_bcastIXadL_ZL6op_mulffEEfffJPKfEEvPKT0_PKT1_PT2_iii15HIP_vector_typeIjLj3EESB_SB_SB_SB_iiiiiiiiiiiDpT3_.uses_vcc, 1
	.set _ZL11k_bin_bcastIXadL_ZL6op_mulffEEfffJPKfEEvPKT0_PKT1_PT2_iii15HIP_vector_typeIjLj3EESB_SB_SB_SB_iiiiiiiiiiiDpT3_.uses_flat_scratch, 0
	.set _ZL11k_bin_bcastIXadL_ZL6op_mulffEEfffJPKfEEvPKT0_PKT1_PT2_iii15HIP_vector_typeIjLj3EESB_SB_SB_SB_iiiiiiiiiiiDpT3_.has_dyn_sized_stack, 0
	.set _ZL11k_bin_bcastIXadL_ZL6op_mulffEEfffJPKfEEvPKT0_PKT1_PT2_iii15HIP_vector_typeIjLj3EESB_SB_SB_SB_iiiiiiiiiiiDpT3_.has_recursion, 0
	.set _ZL11k_bin_bcastIXadL_ZL6op_mulffEEfffJPKfEEvPKT0_PKT1_PT2_iii15HIP_vector_typeIjLj3EESB_SB_SB_SB_iiiiiiiiiiiDpT3_.has_indirect_call, 0
	.section	.AMDGPU.csdata,"",@progbits
; Kernel info:
; codeLenInByte = 712
; TotalNumSgprs: 48
; NumVgprs: 14
; ScratchSize: 0
; MemoryBound: 0
; FloatMode: 240
; IeeeMode: 1
; LDSByteSize: 0 bytes/workgroup (compile time only)
; SGPRBlocks: 5
; VGPRBlocks: 3
; NumSGPRsForWavesPerEU: 48
; NumVGPRsForWavesPerEU: 14
; Occupancy: 10
; WaveLimiterHint : 1
; COMPUTE_PGM_RSRC2:SCRATCH_EN: 0
; COMPUTE_PGM_RSRC2:USER_SGPR: 6
; COMPUTE_PGM_RSRC2:TRAP_HANDLER: 0
; COMPUTE_PGM_RSRC2:TGID_X_EN: 1
; COMPUTE_PGM_RSRC2:TGID_Y_EN: 1
; COMPUTE_PGM_RSRC2:TGID_Z_EN: 1
; COMPUTE_PGM_RSRC2:TIDIG_COMP_CNT: 2
	.section	.text._ZL19k_bin_bcast_unravelIXadL_ZL6op_mulffEE6__halfS0_S0_JPKS0_EEvPKT0_PKT1_PT2_15HIP_vector_typeIjLj3EESC_SC_jSC_SC_SC_SC_SC_SC_iiiiiiiiiiiDpT3_,"axG",@progbits,_ZL19k_bin_bcast_unravelIXadL_ZL6op_mulffEE6__halfS0_S0_JPKS0_EEvPKT0_PKT1_PT2_15HIP_vector_typeIjLj3EESC_SC_jSC_SC_SC_SC_SC_SC_iiiiiiiiiiiDpT3_,comdat
	.globl	_ZL19k_bin_bcast_unravelIXadL_ZL6op_mulffEE6__halfS0_S0_JPKS0_EEvPKT0_PKT1_PT2_15HIP_vector_typeIjLj3EESC_SC_jSC_SC_SC_SC_SC_SC_iiiiiiiiiiiDpT3_ ; -- Begin function _ZL19k_bin_bcast_unravelIXadL_ZL6op_mulffEE6__halfS0_S0_JPKS0_EEvPKT0_PKT1_PT2_15HIP_vector_typeIjLj3EESC_SC_jSC_SC_SC_SC_SC_SC_iiiiiiiiiiiDpT3_
	.p2align	8
	.type	_ZL19k_bin_bcast_unravelIXadL_ZL6op_mulffEE6__halfS0_S0_JPKS0_EEvPKT0_PKT1_PT2_15HIP_vector_typeIjLj3EESC_SC_jSC_SC_SC_SC_SC_SC_iiiiiiiiiiiDpT3_,@function
_ZL19k_bin_bcast_unravelIXadL_ZL6op_mulffEE6__halfS0_S0_JPKS0_EEvPKT0_PKT1_PT2_15HIP_vector_typeIjLj3EESC_SC_jSC_SC_SC_SC_SC_SC_iiiiiiiiiiiDpT3_: ; @_ZL19k_bin_bcast_unravelIXadL_ZL6op_mulffEE6__halfS0_S0_JPKS0_EEvPKT0_PKT1_PT2_15HIP_vector_typeIjLj3EESC_SC_jSC_SC_SC_SC_SC_SC_iiiiiiiiiiiDpT3_
; %bb.0:
	s_load_dword s0, s[4:5], 0xcc
	s_load_dwordx8 s[8:15], s[4:5], 0x38
	s_waitcnt lgkmcnt(0)
	s_and_b32 s0, s0, 0xffff
	s_mul_i32 s6, s6, s0
	v_add_u32_e32 v0, s6, v0
	v_mul_hi_u32 v1, v0, s10
	s_load_dwordx4 s[0:3], s[4:5], 0x18
	s_waitcnt lgkmcnt(0)
	s_load_dword s3, s[4:5], 0x2c
	v_add_u32_e32 v1, v0, v1
	v_lshrrev_b32_e32 v1, s11, v1
	v_mul_lo_u32 v2, v1, s12
	v_sub_u32_e32 v0, v0, v2
	v_mul_hi_u32 v2, v0, s13
	v_add_u32_e32 v2, v0, v2
	v_lshrrev_b32_e32 v3, s14, v2
	v_mul_lo_u32 v2, v3, s15
	v_cmp_gt_u32_e32 vcc, s8, v3
	v_sub_u32_e32 v0, v0, v2
	v_mul_hi_u32 v2, v0, s0
	v_add_u32_e32 v2, v0, v2
	v_lshrrev_b32_e32 v4, s1, v2
	v_mul_lo_u32 v2, v4, s2
	s_waitcnt lgkmcnt(0)
	v_cmp_gt_u32_e64 s[0:1], s3, v4
	v_sub_u32_e32 v0, v0, v2
	v_cmp_gt_u32_e64 s[2:3], s2, v0
	s_and_b64 s[0:1], s[2:3], s[0:1]
	s_and_b64 s[0:1], s[0:1], vcc
	v_cmp_gt_u32_e32 vcc, s9, v1
	s_and_b64 s[0:1], vcc, s[0:1]
	s_and_saveexec_b64 s[2:3], s[0:1]
	s_cbranch_execz .LBB26_4
; %bb.1:
	s_load_dwordx2 s[6:7], s[4:5], 0x0
	s_load_dwordx4 s[0:3], s[4:5], 0xa8
	s_load_dwordx8 s[8:15], s[4:5], 0x88
	s_load_dwordx4 s[24:27], s[4:5], 0x78
	s_load_dwordx8 s[16:23], s[4:5], 0x58
	v_mov_b32_e32 v2, 0
	s_waitcnt lgkmcnt(0)
	s_cmp_eq_u64 s[6:7], 0
	v_mov_b32_e32 v5, 0
	s_cbranch_scc1 .LBB26_3
; %bb.2:
	v_mul_lo_u32 v5, v1, s14
	v_mul_lo_u32 v7, v3, s13
	;; [unrolled: 1-line block ×3, first 2 shown]
	v_mov_b32_e32 v6, 0
	v_mov_b32_e32 v9, s7
	v_add3_u32 v5, v7, v5, v8
	v_lshlrev_b64 v[7:8], 1, v[5:6]
	v_mul_lo_u32 v5, v0, s11
	v_add_co_u32_e32 v7, vcc, s6, v7
	v_addc_co_u32_e32 v8, vcc, v9, v8, vcc
	v_lshlrev_b64 v[5:6], 1, v[5:6]
	v_add_co_u32_e32 v5, vcc, v7, v5
	v_addc_co_u32_e32 v6, vcc, v8, v6, vcc
	global_load_ushort v5, v[5:6], off
	s_waitcnt vmcnt(0)
	v_cvt_f32_f16_e32 v5, v5
.LBB26_3:
	v_mul_hi_u32 v6, s19, v4
	v_mul_hi_u32 v7, s22, v3
	;; [unrolled: 1-line block ×4, first 2 shown]
	v_add_u32_e32 v6, v4, v6
	v_add_u32_e32 v7, v3, v7
	;; [unrolled: 1-line block ×3, first 2 shown]
	v_lshrrev_b32_e32 v6, s20, v6
	v_lshrrev_b32_e32 v7, s23, v7
	;; [unrolled: 1-line block ×3, first 2 shown]
	v_mul_lo_u32 v6, v6, s21
	v_mul_lo_u32 v7, v7, s24
	;; [unrolled: 1-line block ×3, first 2 shown]
	v_add_u32_e32 v9, v0, v9
	v_lshrrev_b32_e32 v9, s17, v9
	v_mul_lo_u32 v9, v9, s18
	v_sub_u32_e32 v6, v4, v6
	v_sub_u32_e32 v7, v3, v7
	;; [unrolled: 1-line block ×3, first 2 shown]
	v_mul_lo_u32 v8, v8, s2
	v_mul_lo_u32 v7, v7, s1
	;; [unrolled: 1-line block ×3, first 2 shown]
	v_sub_u32_e32 v6, v0, v9
	v_mul_lo_u32 v6, v6, s15
	s_load_dwordx2 s[0:1], s[4:5], 0xb8
	v_add3_u32 v8, v7, v8, v10
	v_ashrrev_i32_e32 v9, 31, v8
	v_lshlrev_b64 v[8:9], 1, v[8:9]
	v_ashrrev_i32_e32 v7, 31, v6
	s_waitcnt lgkmcnt(0)
	v_mov_b32_e32 v10, s1
	v_add_co_u32_e32 v8, vcc, s0, v8
	v_lshlrev_b64 v[6:7], 1, v[6:7]
	v_addc_co_u32_e32 v9, vcc, v10, v9, vcc
	v_add_co_u32_e32 v6, vcc, v8, v6
	v_addc_co_u32_e32 v7, vcc, v9, v7, vcc
	global_load_ushort v6, v[6:7], off
	v_mul_lo_u32 v7, v1, s10
	v_mul_lo_u32 v8, v3, s9
	;; [unrolled: 1-line block ×3, first 2 shown]
	s_load_dwordx2 s[0:1], s[4:5], 0x10
	v_mov_b32_e32 v1, v2
	v_lshlrev_b64 v[3:4], 1, v[0:1]
	v_add3_u32 v1, v8, v7, v9
	v_lshlrev_b64 v[0:1], 1, v[1:2]
	s_waitcnt lgkmcnt(0)
	v_mov_b32_e32 v2, s1
	v_add_co_u32_e32 v0, vcc, s0, v0
	v_addc_co_u32_e32 v1, vcc, v2, v1, vcc
	v_add_co_u32_e32 v0, vcc, v0, v3
	v_addc_co_u32_e32 v1, vcc, v1, v4, vcc
	s_waitcnt vmcnt(0)
	v_fma_mixlo_f16 v2, v5, v6, 0 op_sel_hi:[0,1,0]
	global_store_short v[0:1], v2, off
.LBB26_4:
	s_endpgm
	.section	.rodata,"a",@progbits
	.p2align	6, 0x0
	.amdhsa_kernel _ZL19k_bin_bcast_unravelIXadL_ZL6op_mulffEE6__halfS0_S0_JPKS0_EEvPKT0_PKT1_PT2_15HIP_vector_typeIjLj3EESC_SC_jSC_SC_SC_SC_SC_SC_iiiiiiiiiiiDpT3_
		.amdhsa_group_segment_fixed_size 0
		.amdhsa_private_segment_fixed_size 0
		.amdhsa_kernarg_size 448
		.amdhsa_user_sgpr_count 6
		.amdhsa_user_sgpr_private_segment_buffer 1
		.amdhsa_user_sgpr_dispatch_ptr 0
		.amdhsa_user_sgpr_queue_ptr 0
		.amdhsa_user_sgpr_kernarg_segment_ptr 1
		.amdhsa_user_sgpr_dispatch_id 0
		.amdhsa_user_sgpr_flat_scratch_init 0
		.amdhsa_user_sgpr_private_segment_size 0
		.amdhsa_uses_dynamic_stack 0
		.amdhsa_system_sgpr_private_segment_wavefront_offset 0
		.amdhsa_system_sgpr_workgroup_id_x 1
		.amdhsa_system_sgpr_workgroup_id_y 0
		.amdhsa_system_sgpr_workgroup_id_z 0
		.amdhsa_system_sgpr_workgroup_info 0
		.amdhsa_system_vgpr_workitem_id 0
		.amdhsa_next_free_vgpr 11
		.amdhsa_next_free_sgpr 28
		.amdhsa_reserve_vcc 1
		.amdhsa_reserve_flat_scratch 0
		.amdhsa_float_round_mode_32 0
		.amdhsa_float_round_mode_16_64 0
		.amdhsa_float_denorm_mode_32 3
		.amdhsa_float_denorm_mode_16_64 3
		.amdhsa_dx10_clamp 1
		.amdhsa_ieee_mode 1
		.amdhsa_fp16_overflow 0
		.amdhsa_exception_fp_ieee_invalid_op 0
		.amdhsa_exception_fp_denorm_src 0
		.amdhsa_exception_fp_ieee_div_zero 0
		.amdhsa_exception_fp_ieee_overflow 0
		.amdhsa_exception_fp_ieee_underflow 0
		.amdhsa_exception_fp_ieee_inexact 0
		.amdhsa_exception_int_div_zero 0
	.end_amdhsa_kernel
	.section	.text._ZL19k_bin_bcast_unravelIXadL_ZL6op_mulffEE6__halfS0_S0_JPKS0_EEvPKT0_PKT1_PT2_15HIP_vector_typeIjLj3EESC_SC_jSC_SC_SC_SC_SC_SC_iiiiiiiiiiiDpT3_,"axG",@progbits,_ZL19k_bin_bcast_unravelIXadL_ZL6op_mulffEE6__halfS0_S0_JPKS0_EEvPKT0_PKT1_PT2_15HIP_vector_typeIjLj3EESC_SC_jSC_SC_SC_SC_SC_SC_iiiiiiiiiiiDpT3_,comdat
.Lfunc_end26:
	.size	_ZL19k_bin_bcast_unravelIXadL_ZL6op_mulffEE6__halfS0_S0_JPKS0_EEvPKT0_PKT1_PT2_15HIP_vector_typeIjLj3EESC_SC_jSC_SC_SC_SC_SC_SC_iiiiiiiiiiiDpT3_, .Lfunc_end26-_ZL19k_bin_bcast_unravelIXadL_ZL6op_mulffEE6__halfS0_S0_JPKS0_EEvPKT0_PKT1_PT2_15HIP_vector_typeIjLj3EESC_SC_jSC_SC_SC_SC_SC_SC_iiiiiiiiiiiDpT3_
                                        ; -- End function
	.set _ZL19k_bin_bcast_unravelIXadL_ZL6op_mulffEE6__halfS0_S0_JPKS0_EEvPKT0_PKT1_PT2_15HIP_vector_typeIjLj3EESC_SC_jSC_SC_SC_SC_SC_SC_iiiiiiiiiiiDpT3_.num_vgpr, 11
	.set _ZL19k_bin_bcast_unravelIXadL_ZL6op_mulffEE6__halfS0_S0_JPKS0_EEvPKT0_PKT1_PT2_15HIP_vector_typeIjLj3EESC_SC_jSC_SC_SC_SC_SC_SC_iiiiiiiiiiiDpT3_.num_agpr, 0
	.set _ZL19k_bin_bcast_unravelIXadL_ZL6op_mulffEE6__halfS0_S0_JPKS0_EEvPKT0_PKT1_PT2_15HIP_vector_typeIjLj3EESC_SC_jSC_SC_SC_SC_SC_SC_iiiiiiiiiiiDpT3_.numbered_sgpr, 28
	.set _ZL19k_bin_bcast_unravelIXadL_ZL6op_mulffEE6__halfS0_S0_JPKS0_EEvPKT0_PKT1_PT2_15HIP_vector_typeIjLj3EESC_SC_jSC_SC_SC_SC_SC_SC_iiiiiiiiiiiDpT3_.num_named_barrier, 0
	.set _ZL19k_bin_bcast_unravelIXadL_ZL6op_mulffEE6__halfS0_S0_JPKS0_EEvPKT0_PKT1_PT2_15HIP_vector_typeIjLj3EESC_SC_jSC_SC_SC_SC_SC_SC_iiiiiiiiiiiDpT3_.private_seg_size, 0
	.set _ZL19k_bin_bcast_unravelIXadL_ZL6op_mulffEE6__halfS0_S0_JPKS0_EEvPKT0_PKT1_PT2_15HIP_vector_typeIjLj3EESC_SC_jSC_SC_SC_SC_SC_SC_iiiiiiiiiiiDpT3_.uses_vcc, 1
	.set _ZL19k_bin_bcast_unravelIXadL_ZL6op_mulffEE6__halfS0_S0_JPKS0_EEvPKT0_PKT1_PT2_15HIP_vector_typeIjLj3EESC_SC_jSC_SC_SC_SC_SC_SC_iiiiiiiiiiiDpT3_.uses_flat_scratch, 0
	.set _ZL19k_bin_bcast_unravelIXadL_ZL6op_mulffEE6__halfS0_S0_JPKS0_EEvPKT0_PKT1_PT2_15HIP_vector_typeIjLj3EESC_SC_jSC_SC_SC_SC_SC_SC_iiiiiiiiiiiDpT3_.has_dyn_sized_stack, 0
	.set _ZL19k_bin_bcast_unravelIXadL_ZL6op_mulffEE6__halfS0_S0_JPKS0_EEvPKT0_PKT1_PT2_15HIP_vector_typeIjLj3EESC_SC_jSC_SC_SC_SC_SC_SC_iiiiiiiiiiiDpT3_.has_recursion, 0
	.set _ZL19k_bin_bcast_unravelIXadL_ZL6op_mulffEE6__halfS0_S0_JPKS0_EEvPKT0_PKT1_PT2_15HIP_vector_typeIjLj3EESC_SC_jSC_SC_SC_SC_SC_SC_iiiiiiiiiiiDpT3_.has_indirect_call, 0
	.section	.AMDGPU.csdata,"",@progbits
; Kernel info:
; codeLenInByte = 668
; TotalNumSgprs: 32
; NumVgprs: 11
; ScratchSize: 0
; MemoryBound: 0
; FloatMode: 240
; IeeeMode: 1
; LDSByteSize: 0 bytes/workgroup (compile time only)
; SGPRBlocks: 3
; VGPRBlocks: 2
; NumSGPRsForWavesPerEU: 32
; NumVGPRsForWavesPerEU: 11
; Occupancy: 10
; WaveLimiterHint : 1
; COMPUTE_PGM_RSRC2:SCRATCH_EN: 0
; COMPUTE_PGM_RSRC2:USER_SGPR: 6
; COMPUTE_PGM_RSRC2:TRAP_HANDLER: 0
; COMPUTE_PGM_RSRC2:TGID_X_EN: 1
; COMPUTE_PGM_RSRC2:TGID_Y_EN: 0
; COMPUTE_PGM_RSRC2:TGID_Z_EN: 0
; COMPUTE_PGM_RSRC2:TIDIG_COMP_CNT: 0
	.section	.text._ZL11k_bin_bcastIXadL_ZL6op_mulffEE6__halfS0_S0_JPKS0_EEvPKT0_PKT1_PT2_iii15HIP_vector_typeIjLj3EESC_SC_SC_SC_iiiiiiiiiiiDpT3_,"axG",@progbits,_ZL11k_bin_bcastIXadL_ZL6op_mulffEE6__halfS0_S0_JPKS0_EEvPKT0_PKT1_PT2_iii15HIP_vector_typeIjLj3EESC_SC_SC_SC_iiiiiiiiiiiDpT3_,comdat
	.globl	_ZL11k_bin_bcastIXadL_ZL6op_mulffEE6__halfS0_S0_JPKS0_EEvPKT0_PKT1_PT2_iii15HIP_vector_typeIjLj3EESC_SC_SC_SC_iiiiiiiiiiiDpT3_ ; -- Begin function _ZL11k_bin_bcastIXadL_ZL6op_mulffEE6__halfS0_S0_JPKS0_EEvPKT0_PKT1_PT2_iii15HIP_vector_typeIjLj3EESC_SC_SC_SC_iiiiiiiiiiiDpT3_
	.p2align	8
	.type	_ZL11k_bin_bcastIXadL_ZL6op_mulffEE6__halfS0_S0_JPKS0_EEvPKT0_PKT1_PT2_iii15HIP_vector_typeIjLj3EESC_SC_SC_SC_iiiiiiiiiiiDpT3_,@function
_ZL11k_bin_bcastIXadL_ZL6op_mulffEE6__halfS0_S0_JPKS0_EEvPKT0_PKT1_PT2_iii15HIP_vector_typeIjLj3EESC_SC_SC_SC_iiiiiiiiiiiDpT3_: ; @_ZL11k_bin_bcastIXadL_ZL6op_mulffEE6__halfS0_S0_JPKS0_EEvPKT0_PKT1_PT2_iii15HIP_vector_typeIjLj3EESC_SC_SC_SC_iiiiiiiiiiiDpT3_
; %bb.0:
	s_load_dwordx2 s[0:1], s[4:5], 0xa4
	s_load_dwordx8 s[12:19], s[4:5], 0x18
	s_add_u32 s2, s4, 0x98
	s_addc_u32 s3, s5, 0
	s_waitcnt lgkmcnt(0)
	s_and_b32 s1, s1, 0xffff
	s_mul_i32 s8, s8, s1
	v_add_u32_e32 v2, s8, v2
	v_mul_hi_u32 v3, v2, s15
	s_lshr_b32 s1, s0, 16
	s_and_b32 s8, s0, 0xffff
	s_mul_i32 s6, s6, s8
	v_add_u32_e32 v3, v2, v3
	v_lshrrev_b32_e32 v7, s16, v3
	v_mul_lo_u32 v4, v7, s17
	s_mul_i32 s7, s7, s1
	v_add_u32_e32 v0, s6, v0
	v_add_u32_e32 v3, s7, v1
	v_cmp_gt_u32_e32 vcc, s12, v0
	v_cmp_gt_u32_e64 s[0:1], s13, v3
	v_sub_u32_e32 v4, v2, v4
	s_and_b64 s[0:1], vcc, s[0:1]
	v_cmp_gt_u32_e32 vcc, s14, v7
	s_and_b64 s[0:1], s[0:1], vcc
	v_cmp_gt_u32_e32 vcc, s17, v4
	s_and_b64 s[0:1], s[0:1], vcc
	s_and_saveexec_b64 s[6:7], s[0:1]
	s_cbranch_execz .LBB27_6
; %bb.1:
	v_cmp_gt_i32_e32 vcc, s12, v0
	s_and_b64 exec, exec, vcc
	s_cbranch_execz .LBB27_6
; %bb.2:
	s_load_dwordx8 s[20:27], s[4:5], 0x60
	s_load_dword s9, s[2:3], 0x0
	s_load_dwordx2 s[6:7], s[4:5], 0x0
	s_load_dwordx8 s[36:43], s[4:5], 0x3c
	s_load_dword s13, s[4:5], 0x38
	s_load_dwordx2 s[10:11], s[4:5], 0x10
	s_nop 0
	s_load_dwordx4 s[0:3], s[4:5], 0x80
	s_load_dwordx2 s[14:15], s[4:5], 0x90
	s_waitcnt lgkmcnt(0)
	v_mul_lo_u32 v8, v4, s22
	v_mul_lo_u32 v9, v7, s21
	;; [unrolled: 1-line block ×4, first 2 shown]
	v_mul_hi_u32 v11, s42, v4
	s_load_dword s3, s[4:5], 0x5c
	v_add3_u32 v8, v9, v10, v8
	v_mul_hi_u32 v10, s39, v7
	v_add_u32_e32 v11, v4, v11
	v_mul_lo_u32 v1, v4, s26
	v_mul_lo_u32 v6, v3, s24
	v_add_u32_e32 v10, v7, v10
	v_lshrrev_b32_e32 v10, s40, v10
	v_mul_lo_u32 v10, v10, s41
	v_lshrrev_b32_e32 v11, s43, v11
	s_waitcnt lgkmcnt(0)
	v_mul_lo_u32 v11, v11, s3
	v_mov_b32_e32 v2, 0
	v_sub_u32_e32 v7, v7, v10
	v_mul_hi_u32 v10, s36, v3
	v_add3_u32 v1, v5, v6, v1
	v_lshlrev_b64 v[5:6], 1, v[1:2]
	v_sub_u32_e32 v4, v4, v11
	v_add_u32_e32 v10, v3, v10
	v_lshrrev_b32_e32 v10, s37, v10
	v_mul_lo_u32 v10, v10, s38
	v_mov_b32_e32 v9, v2
	v_mul_lo_u32 v12, v7, s1
	v_mul_lo_u32 v4, v4, s2
	v_sub_u32_e32 v3, v3, v10
	v_mul_lo_u32 v3, v3, s0
	v_mov_b32_e32 v1, s7
	v_add_co_u32_e32 v5, vcc, s6, v5
	v_lshlrev_b64 v[8:9], 1, v[8:9]
	v_addc_co_u32_e32 v6, vcc, v1, v6, vcc
	v_mov_b32_e32 v1, s11
	v_add_co_u32_e32 v7, vcc, s10, v8
	v_addc_co_u32_e32 v8, vcc, v1, v9, vcc
	v_add3_u32 v1, v12, v4, v3
	v_lshlrev_b64 v[3:4], 1, v[1:2]
	s_cmp_lg_u64 s[6:7], 0
	v_add_co_u32_e32 v9, vcc, s14, v3
	v_mul_lo_u32 v3, s23, v0
	s_cselect_b64 s[0:1], -1, 0
	v_mov_b32_e32 v1, s15
	v_addc_co_u32_e32 v10, vcc, v1, v4, vcc
	s_mul_i32 s6, s9, s8
	v_cndmask_b32_e64 v1, 0, 1, s[0:1]
	s_mov_b64 s[4:5], 0
	s_mul_i32 s7, s6, s23
	s_sub_i32 s8, 0, s13
	v_cmp_ne_u32_e64 s[0:1], 1, v1
	s_branch .LBB27_4
.LBB27_3:                               ;   in Loop: Header=BB27_4 Depth=1
	v_mul_hi_u32 v1, s18, v0
	v_add_u32_e32 v3, s7, v3
	v_add_u32_e32 v1, v0, v1
	v_lshrrev_b32_e32 v1, s19, v1
	v_mad_u64_u32 v[11:12], s[2:3], s8, v1, v[0:1]
	v_mul_lo_u32 v1, v11, s27
	v_lshlrev_b64 v[11:12], 1, v[1:2]
	v_ashrrev_i32_e32 v1, 31, v0
	v_add_co_u32_e32 v11, vcc, v9, v11
	v_addc_co_u32_e32 v12, vcc, v10, v12, vcc
	global_load_ushort v13, v[11:12], off
	v_lshlrev_b64 v[11:12], 1, v[0:1]
	v_add_u32_e32 v0, s6, v0
	v_cmp_le_i32_e32 vcc, s12, v0
	v_add_co_u32_e64 v11, s[2:3], v7, v11
	v_addc_co_u32_e64 v12, s[2:3], v8, v12, s[2:3]
	s_or_b64 s[4:5], vcc, s[4:5]
	s_waitcnt vmcnt(0)
	v_fma_mixlo_f16 v1, v4, v13, 0 op_sel_hi:[0,1,0]
	global_store_short v[11:12], v1, off
	s_andn2_b64 exec, exec, s[4:5]
	s_cbranch_execz .LBB27_6
.LBB27_4:                               ; =>This Inner Loop Header: Depth=1
	s_and_b64 vcc, exec, s[0:1]
	v_mov_b32_e32 v4, 0
	s_cbranch_vccnz .LBB27_3
; %bb.5:                                ;   in Loop: Header=BB27_4 Depth=1
	v_ashrrev_i32_e32 v4, 31, v3
	v_lshlrev_b64 v[11:12], 1, v[3:4]
	v_add_co_u32_e32 v11, vcc, v5, v11
	v_addc_co_u32_e32 v12, vcc, v6, v12, vcc
	global_load_ushort v1, v[11:12], off
	s_waitcnt vmcnt(0)
	v_cvt_f32_f16_e32 v4, v1
	s_branch .LBB27_3
.LBB27_6:
	s_endpgm
	.section	.rodata,"a",@progbits
	.p2align	6, 0x0
	.amdhsa_kernel _ZL11k_bin_bcastIXadL_ZL6op_mulffEE6__halfS0_S0_JPKS0_EEvPKT0_PKT1_PT2_iii15HIP_vector_typeIjLj3EESC_SC_SC_SC_iiiiiiiiiiiDpT3_
		.amdhsa_group_segment_fixed_size 0
		.amdhsa_private_segment_fixed_size 0
		.amdhsa_kernarg_size 408
		.amdhsa_user_sgpr_count 6
		.amdhsa_user_sgpr_private_segment_buffer 1
		.amdhsa_user_sgpr_dispatch_ptr 0
		.amdhsa_user_sgpr_queue_ptr 0
		.amdhsa_user_sgpr_kernarg_segment_ptr 1
		.amdhsa_user_sgpr_dispatch_id 0
		.amdhsa_user_sgpr_flat_scratch_init 0
		.amdhsa_user_sgpr_private_segment_size 0
		.amdhsa_uses_dynamic_stack 0
		.amdhsa_system_sgpr_private_segment_wavefront_offset 0
		.amdhsa_system_sgpr_workgroup_id_x 1
		.amdhsa_system_sgpr_workgroup_id_y 1
		.amdhsa_system_sgpr_workgroup_id_z 1
		.amdhsa_system_sgpr_workgroup_info 0
		.amdhsa_system_vgpr_workitem_id 2
		.amdhsa_next_free_vgpr 14
		.amdhsa_next_free_sgpr 44
		.amdhsa_reserve_vcc 1
		.amdhsa_reserve_flat_scratch 0
		.amdhsa_float_round_mode_32 0
		.amdhsa_float_round_mode_16_64 0
		.amdhsa_float_denorm_mode_32 3
		.amdhsa_float_denorm_mode_16_64 3
		.amdhsa_dx10_clamp 1
		.amdhsa_ieee_mode 1
		.amdhsa_fp16_overflow 0
		.amdhsa_exception_fp_ieee_invalid_op 0
		.amdhsa_exception_fp_denorm_src 0
		.amdhsa_exception_fp_ieee_div_zero 0
		.amdhsa_exception_fp_ieee_overflow 0
		.amdhsa_exception_fp_ieee_underflow 0
		.amdhsa_exception_fp_ieee_inexact 0
		.amdhsa_exception_int_div_zero 0
	.end_amdhsa_kernel
	.section	.text._ZL11k_bin_bcastIXadL_ZL6op_mulffEE6__halfS0_S0_JPKS0_EEvPKT0_PKT1_PT2_iii15HIP_vector_typeIjLj3EESC_SC_SC_SC_iiiiiiiiiiiDpT3_,"axG",@progbits,_ZL11k_bin_bcastIXadL_ZL6op_mulffEE6__halfS0_S0_JPKS0_EEvPKT0_PKT1_PT2_iii15HIP_vector_typeIjLj3EESC_SC_SC_SC_iiiiiiiiiiiDpT3_,comdat
.Lfunc_end27:
	.size	_ZL11k_bin_bcastIXadL_ZL6op_mulffEE6__halfS0_S0_JPKS0_EEvPKT0_PKT1_PT2_iii15HIP_vector_typeIjLj3EESC_SC_SC_SC_iiiiiiiiiiiDpT3_, .Lfunc_end27-_ZL11k_bin_bcastIXadL_ZL6op_mulffEE6__halfS0_S0_JPKS0_EEvPKT0_PKT1_PT2_iii15HIP_vector_typeIjLj3EESC_SC_SC_SC_iiiiiiiiiiiDpT3_
                                        ; -- End function
	.set _ZL11k_bin_bcastIXadL_ZL6op_mulffEE6__halfS0_S0_JPKS0_EEvPKT0_PKT1_PT2_iii15HIP_vector_typeIjLj3EESC_SC_SC_SC_iiiiiiiiiiiDpT3_.num_vgpr, 14
	.set _ZL11k_bin_bcastIXadL_ZL6op_mulffEE6__halfS0_S0_JPKS0_EEvPKT0_PKT1_PT2_iii15HIP_vector_typeIjLj3EESC_SC_SC_SC_iiiiiiiiiiiDpT3_.num_agpr, 0
	.set _ZL11k_bin_bcastIXadL_ZL6op_mulffEE6__halfS0_S0_JPKS0_EEvPKT0_PKT1_PT2_iii15HIP_vector_typeIjLj3EESC_SC_SC_SC_iiiiiiiiiiiDpT3_.numbered_sgpr, 44
	.set _ZL11k_bin_bcastIXadL_ZL6op_mulffEE6__halfS0_S0_JPKS0_EEvPKT0_PKT1_PT2_iii15HIP_vector_typeIjLj3EESC_SC_SC_SC_iiiiiiiiiiiDpT3_.num_named_barrier, 0
	.set _ZL11k_bin_bcastIXadL_ZL6op_mulffEE6__halfS0_S0_JPKS0_EEvPKT0_PKT1_PT2_iii15HIP_vector_typeIjLj3EESC_SC_SC_SC_iiiiiiiiiiiDpT3_.private_seg_size, 0
	.set _ZL11k_bin_bcastIXadL_ZL6op_mulffEE6__halfS0_S0_JPKS0_EEvPKT0_PKT1_PT2_iii15HIP_vector_typeIjLj3EESC_SC_SC_SC_iiiiiiiiiiiDpT3_.uses_vcc, 1
	.set _ZL11k_bin_bcastIXadL_ZL6op_mulffEE6__halfS0_S0_JPKS0_EEvPKT0_PKT1_PT2_iii15HIP_vector_typeIjLj3EESC_SC_SC_SC_iiiiiiiiiiiDpT3_.uses_flat_scratch, 0
	.set _ZL11k_bin_bcastIXadL_ZL6op_mulffEE6__halfS0_S0_JPKS0_EEvPKT0_PKT1_PT2_iii15HIP_vector_typeIjLj3EESC_SC_SC_SC_iiiiiiiiiiiDpT3_.has_dyn_sized_stack, 0
	.set _ZL11k_bin_bcastIXadL_ZL6op_mulffEE6__halfS0_S0_JPKS0_EEvPKT0_PKT1_PT2_iii15HIP_vector_typeIjLj3EESC_SC_SC_SC_iiiiiiiiiiiDpT3_.has_recursion, 0
	.set _ZL11k_bin_bcastIXadL_ZL6op_mulffEE6__halfS0_S0_JPKS0_EEvPKT0_PKT1_PT2_iii15HIP_vector_typeIjLj3EESC_SC_SC_SC_iiiiiiiiiiiDpT3_.has_indirect_call, 0
	.section	.AMDGPU.csdata,"",@progbits
; Kernel info:
; codeLenInByte = 724
; TotalNumSgprs: 48
; NumVgprs: 14
; ScratchSize: 0
; MemoryBound: 0
; FloatMode: 240
; IeeeMode: 1
; LDSByteSize: 0 bytes/workgroup (compile time only)
; SGPRBlocks: 5
; VGPRBlocks: 3
; NumSGPRsForWavesPerEU: 48
; NumVGPRsForWavesPerEU: 14
; Occupancy: 10
; WaveLimiterHint : 1
; COMPUTE_PGM_RSRC2:SCRATCH_EN: 0
; COMPUTE_PGM_RSRC2:USER_SGPR: 6
; COMPUTE_PGM_RSRC2:TRAP_HANDLER: 0
; COMPUTE_PGM_RSRC2:TGID_X_EN: 1
; COMPUTE_PGM_RSRC2:TGID_Y_EN: 1
; COMPUTE_PGM_RSRC2:TGID_Z_EN: 1
; COMPUTE_PGM_RSRC2:TIDIG_COMP_CNT: 2
	.section	.text._ZL19k_bin_bcast_unravelIXadL_ZL6op_mulffEE6__halffS0_JPKfEEvPKT0_PKT1_PT2_15HIP_vector_typeIjLj3EESC_SC_jSC_SC_SC_SC_SC_SC_iiiiiiiiiiiDpT3_,"axG",@progbits,_ZL19k_bin_bcast_unravelIXadL_ZL6op_mulffEE6__halffS0_JPKfEEvPKT0_PKT1_PT2_15HIP_vector_typeIjLj3EESC_SC_jSC_SC_SC_SC_SC_SC_iiiiiiiiiiiDpT3_,comdat
	.globl	_ZL19k_bin_bcast_unravelIXadL_ZL6op_mulffEE6__halffS0_JPKfEEvPKT0_PKT1_PT2_15HIP_vector_typeIjLj3EESC_SC_jSC_SC_SC_SC_SC_SC_iiiiiiiiiiiDpT3_ ; -- Begin function _ZL19k_bin_bcast_unravelIXadL_ZL6op_mulffEE6__halffS0_JPKfEEvPKT0_PKT1_PT2_15HIP_vector_typeIjLj3EESC_SC_jSC_SC_SC_SC_SC_SC_iiiiiiiiiiiDpT3_
	.p2align	8
	.type	_ZL19k_bin_bcast_unravelIXadL_ZL6op_mulffEE6__halffS0_JPKfEEvPKT0_PKT1_PT2_15HIP_vector_typeIjLj3EESC_SC_jSC_SC_SC_SC_SC_SC_iiiiiiiiiiiDpT3_,@function
_ZL19k_bin_bcast_unravelIXadL_ZL6op_mulffEE6__halffS0_JPKfEEvPKT0_PKT1_PT2_15HIP_vector_typeIjLj3EESC_SC_jSC_SC_SC_SC_SC_SC_iiiiiiiiiiiDpT3_: ; @_ZL19k_bin_bcast_unravelIXadL_ZL6op_mulffEE6__halffS0_JPKfEEvPKT0_PKT1_PT2_15HIP_vector_typeIjLj3EESC_SC_jSC_SC_SC_SC_SC_SC_iiiiiiiiiiiDpT3_
; %bb.0:
	s_load_dword s0, s[4:5], 0xcc
	s_load_dwordx8 s[8:15], s[4:5], 0x38
	s_waitcnt lgkmcnt(0)
	s_and_b32 s0, s0, 0xffff
	s_mul_i32 s6, s6, s0
	v_add_u32_e32 v0, s6, v0
	v_mul_hi_u32 v1, v0, s10
	s_load_dwordx4 s[0:3], s[4:5], 0x18
	s_waitcnt lgkmcnt(0)
	s_load_dword s3, s[4:5], 0x2c
	v_add_u32_e32 v1, v0, v1
	v_lshrrev_b32_e32 v1, s11, v1
	v_mul_lo_u32 v2, v1, s12
	v_sub_u32_e32 v0, v0, v2
	v_mul_hi_u32 v2, v0, s13
	v_add_u32_e32 v2, v0, v2
	v_lshrrev_b32_e32 v3, s14, v2
	v_mul_lo_u32 v2, v3, s15
	v_cmp_gt_u32_e32 vcc, s8, v3
	v_sub_u32_e32 v0, v0, v2
	v_mul_hi_u32 v2, v0, s0
	v_add_u32_e32 v2, v0, v2
	v_lshrrev_b32_e32 v4, s1, v2
	v_mul_lo_u32 v2, v4, s2
	s_waitcnt lgkmcnt(0)
	v_cmp_gt_u32_e64 s[0:1], s3, v4
	v_sub_u32_e32 v0, v0, v2
	v_cmp_gt_u32_e64 s[2:3], s2, v0
	s_and_b64 s[0:1], s[2:3], s[0:1]
	s_and_b64 s[0:1], s[0:1], vcc
	v_cmp_gt_u32_e32 vcc, s9, v1
	s_and_b64 s[0:1], vcc, s[0:1]
	s_and_saveexec_b64 s[2:3], s[0:1]
	s_cbranch_execz .LBB28_4
; %bb.1:
	s_load_dwordx2 s[6:7], s[4:5], 0x0
	s_load_dwordx4 s[0:3], s[4:5], 0xa8
	s_load_dwordx8 s[8:15], s[4:5], 0x88
	s_load_dwordx4 s[24:27], s[4:5], 0x78
	s_load_dwordx8 s[16:23], s[4:5], 0x58
	v_mov_b32_e32 v2, 0
	s_waitcnt lgkmcnt(0)
	s_cmp_eq_u64 s[6:7], 0
	v_mov_b32_e32 v5, 0
	s_cbranch_scc1 .LBB28_3
; %bb.2:
	v_mul_lo_u32 v5, v1, s14
	v_mul_lo_u32 v7, v3, s13
	;; [unrolled: 1-line block ×3, first 2 shown]
	v_mov_b32_e32 v6, 0
	v_mov_b32_e32 v9, s7
	v_add3_u32 v5, v7, v5, v8
	v_lshlrev_b64 v[7:8], 1, v[5:6]
	v_mul_lo_u32 v5, v0, s11
	v_add_co_u32_e32 v7, vcc, s6, v7
	v_addc_co_u32_e32 v8, vcc, v9, v8, vcc
	v_lshlrev_b64 v[5:6], 1, v[5:6]
	v_add_co_u32_e32 v5, vcc, v7, v5
	v_addc_co_u32_e32 v6, vcc, v8, v6, vcc
	global_load_ushort v5, v[5:6], off
	s_waitcnt vmcnt(0)
	v_cvt_f32_f16_e32 v5, v5
.LBB28_3:
	v_mul_hi_u32 v6, s19, v4
	v_mul_hi_u32 v7, s22, v3
	;; [unrolled: 1-line block ×4, first 2 shown]
	v_add_u32_e32 v6, v4, v6
	v_add_u32_e32 v7, v3, v7
	v_add_u32_e32 v8, v1, v8
	v_lshrrev_b32_e32 v6, s20, v6
	v_lshrrev_b32_e32 v7, s23, v7
	;; [unrolled: 1-line block ×3, first 2 shown]
	v_mul_lo_u32 v6, v6, s21
	v_mul_lo_u32 v7, v7, s24
	;; [unrolled: 1-line block ×3, first 2 shown]
	v_add_u32_e32 v9, v0, v9
	v_lshrrev_b32_e32 v9, s17, v9
	v_mul_lo_u32 v9, v9, s18
	v_sub_u32_e32 v6, v4, v6
	v_sub_u32_e32 v7, v3, v7
	;; [unrolled: 1-line block ×3, first 2 shown]
	v_mul_lo_u32 v8, v8, s2
	v_mul_lo_u32 v7, v7, s1
	;; [unrolled: 1-line block ×3, first 2 shown]
	v_sub_u32_e32 v6, v0, v9
	v_mul_lo_u32 v6, v6, s15
	s_load_dwordx2 s[0:1], s[4:5], 0xb8
	v_add3_u32 v8, v7, v8, v10
	v_ashrrev_i32_e32 v9, 31, v8
	v_lshlrev_b64 v[8:9], 2, v[8:9]
	v_ashrrev_i32_e32 v7, 31, v6
	s_waitcnt lgkmcnt(0)
	v_mov_b32_e32 v10, s1
	v_add_co_u32_e32 v8, vcc, s0, v8
	v_lshlrev_b64 v[6:7], 2, v[6:7]
	v_addc_co_u32_e32 v9, vcc, v10, v9, vcc
	v_add_co_u32_e32 v6, vcc, v8, v6
	v_addc_co_u32_e32 v7, vcc, v9, v7, vcc
	global_load_dword v6, v[6:7], off
	v_mul_lo_u32 v7, v1, s10
	v_mul_lo_u32 v8, v3, s9
	;; [unrolled: 1-line block ×3, first 2 shown]
	s_load_dwordx2 s[0:1], s[4:5], 0x10
	v_mov_b32_e32 v1, v2
	v_lshlrev_b64 v[3:4], 1, v[0:1]
	v_add3_u32 v1, v8, v7, v9
	v_lshlrev_b64 v[0:1], 1, v[1:2]
	s_waitcnt lgkmcnt(0)
	v_mov_b32_e32 v2, s1
	v_add_co_u32_e32 v0, vcc, s0, v0
	v_addc_co_u32_e32 v1, vcc, v2, v1, vcc
	v_add_co_u32_e32 v0, vcc, v0, v3
	v_addc_co_u32_e32 v1, vcc, v1, v4, vcc
	s_waitcnt vmcnt(0)
	v_fma_mixlo_f16 v2, v5, v6, 0
	global_store_short v[0:1], v2, off
.LBB28_4:
	s_endpgm
	.section	.rodata,"a",@progbits
	.p2align	6, 0x0
	.amdhsa_kernel _ZL19k_bin_bcast_unravelIXadL_ZL6op_mulffEE6__halffS0_JPKfEEvPKT0_PKT1_PT2_15HIP_vector_typeIjLj3EESC_SC_jSC_SC_SC_SC_SC_SC_iiiiiiiiiiiDpT3_
		.amdhsa_group_segment_fixed_size 0
		.amdhsa_private_segment_fixed_size 0
		.amdhsa_kernarg_size 448
		.amdhsa_user_sgpr_count 6
		.amdhsa_user_sgpr_private_segment_buffer 1
		.amdhsa_user_sgpr_dispatch_ptr 0
		.amdhsa_user_sgpr_queue_ptr 0
		.amdhsa_user_sgpr_kernarg_segment_ptr 1
		.amdhsa_user_sgpr_dispatch_id 0
		.amdhsa_user_sgpr_flat_scratch_init 0
		.amdhsa_user_sgpr_private_segment_size 0
		.amdhsa_uses_dynamic_stack 0
		.amdhsa_system_sgpr_private_segment_wavefront_offset 0
		.amdhsa_system_sgpr_workgroup_id_x 1
		.amdhsa_system_sgpr_workgroup_id_y 0
		.amdhsa_system_sgpr_workgroup_id_z 0
		.amdhsa_system_sgpr_workgroup_info 0
		.amdhsa_system_vgpr_workitem_id 0
		.amdhsa_next_free_vgpr 11
		.amdhsa_next_free_sgpr 28
		.amdhsa_reserve_vcc 1
		.amdhsa_reserve_flat_scratch 0
		.amdhsa_float_round_mode_32 0
		.amdhsa_float_round_mode_16_64 0
		.amdhsa_float_denorm_mode_32 3
		.amdhsa_float_denorm_mode_16_64 3
		.amdhsa_dx10_clamp 1
		.amdhsa_ieee_mode 1
		.amdhsa_fp16_overflow 0
		.amdhsa_exception_fp_ieee_invalid_op 0
		.amdhsa_exception_fp_denorm_src 0
		.amdhsa_exception_fp_ieee_div_zero 0
		.amdhsa_exception_fp_ieee_overflow 0
		.amdhsa_exception_fp_ieee_underflow 0
		.amdhsa_exception_fp_ieee_inexact 0
		.amdhsa_exception_int_div_zero 0
	.end_amdhsa_kernel
	.section	.text._ZL19k_bin_bcast_unravelIXadL_ZL6op_mulffEE6__halffS0_JPKfEEvPKT0_PKT1_PT2_15HIP_vector_typeIjLj3EESC_SC_jSC_SC_SC_SC_SC_SC_iiiiiiiiiiiDpT3_,"axG",@progbits,_ZL19k_bin_bcast_unravelIXadL_ZL6op_mulffEE6__halffS0_JPKfEEvPKT0_PKT1_PT2_15HIP_vector_typeIjLj3EESC_SC_jSC_SC_SC_SC_SC_SC_iiiiiiiiiiiDpT3_,comdat
.Lfunc_end28:
	.size	_ZL19k_bin_bcast_unravelIXadL_ZL6op_mulffEE6__halffS0_JPKfEEvPKT0_PKT1_PT2_15HIP_vector_typeIjLj3EESC_SC_jSC_SC_SC_SC_SC_SC_iiiiiiiiiiiDpT3_, .Lfunc_end28-_ZL19k_bin_bcast_unravelIXadL_ZL6op_mulffEE6__halffS0_JPKfEEvPKT0_PKT1_PT2_15HIP_vector_typeIjLj3EESC_SC_jSC_SC_SC_SC_SC_SC_iiiiiiiiiiiDpT3_
                                        ; -- End function
	.set _ZL19k_bin_bcast_unravelIXadL_ZL6op_mulffEE6__halffS0_JPKfEEvPKT0_PKT1_PT2_15HIP_vector_typeIjLj3EESC_SC_jSC_SC_SC_SC_SC_SC_iiiiiiiiiiiDpT3_.num_vgpr, 11
	.set _ZL19k_bin_bcast_unravelIXadL_ZL6op_mulffEE6__halffS0_JPKfEEvPKT0_PKT1_PT2_15HIP_vector_typeIjLj3EESC_SC_jSC_SC_SC_SC_SC_SC_iiiiiiiiiiiDpT3_.num_agpr, 0
	.set _ZL19k_bin_bcast_unravelIXadL_ZL6op_mulffEE6__halffS0_JPKfEEvPKT0_PKT1_PT2_15HIP_vector_typeIjLj3EESC_SC_jSC_SC_SC_SC_SC_SC_iiiiiiiiiiiDpT3_.numbered_sgpr, 28
	.set _ZL19k_bin_bcast_unravelIXadL_ZL6op_mulffEE6__halffS0_JPKfEEvPKT0_PKT1_PT2_15HIP_vector_typeIjLj3EESC_SC_jSC_SC_SC_SC_SC_SC_iiiiiiiiiiiDpT3_.num_named_barrier, 0
	.set _ZL19k_bin_bcast_unravelIXadL_ZL6op_mulffEE6__halffS0_JPKfEEvPKT0_PKT1_PT2_15HIP_vector_typeIjLj3EESC_SC_jSC_SC_SC_SC_SC_SC_iiiiiiiiiiiDpT3_.private_seg_size, 0
	.set _ZL19k_bin_bcast_unravelIXadL_ZL6op_mulffEE6__halffS0_JPKfEEvPKT0_PKT1_PT2_15HIP_vector_typeIjLj3EESC_SC_jSC_SC_SC_SC_SC_SC_iiiiiiiiiiiDpT3_.uses_vcc, 1
	.set _ZL19k_bin_bcast_unravelIXadL_ZL6op_mulffEE6__halffS0_JPKfEEvPKT0_PKT1_PT2_15HIP_vector_typeIjLj3EESC_SC_jSC_SC_SC_SC_SC_SC_iiiiiiiiiiiDpT3_.uses_flat_scratch, 0
	.set _ZL19k_bin_bcast_unravelIXadL_ZL6op_mulffEE6__halffS0_JPKfEEvPKT0_PKT1_PT2_15HIP_vector_typeIjLj3EESC_SC_jSC_SC_SC_SC_SC_SC_iiiiiiiiiiiDpT3_.has_dyn_sized_stack, 0
	.set _ZL19k_bin_bcast_unravelIXadL_ZL6op_mulffEE6__halffS0_JPKfEEvPKT0_PKT1_PT2_15HIP_vector_typeIjLj3EESC_SC_jSC_SC_SC_SC_SC_SC_iiiiiiiiiiiDpT3_.has_recursion, 0
	.set _ZL19k_bin_bcast_unravelIXadL_ZL6op_mulffEE6__halffS0_JPKfEEvPKT0_PKT1_PT2_15HIP_vector_typeIjLj3EESC_SC_jSC_SC_SC_SC_SC_SC_iiiiiiiiiiiDpT3_.has_indirect_call, 0
	.section	.AMDGPU.csdata,"",@progbits
; Kernel info:
; codeLenInByte = 668
; TotalNumSgprs: 32
; NumVgprs: 11
; ScratchSize: 0
; MemoryBound: 0
; FloatMode: 240
; IeeeMode: 1
; LDSByteSize: 0 bytes/workgroup (compile time only)
; SGPRBlocks: 3
; VGPRBlocks: 2
; NumSGPRsForWavesPerEU: 32
; NumVGPRsForWavesPerEU: 11
; Occupancy: 10
; WaveLimiterHint : 1
; COMPUTE_PGM_RSRC2:SCRATCH_EN: 0
; COMPUTE_PGM_RSRC2:USER_SGPR: 6
; COMPUTE_PGM_RSRC2:TRAP_HANDLER: 0
; COMPUTE_PGM_RSRC2:TGID_X_EN: 1
; COMPUTE_PGM_RSRC2:TGID_Y_EN: 0
; COMPUTE_PGM_RSRC2:TGID_Z_EN: 0
; COMPUTE_PGM_RSRC2:TIDIG_COMP_CNT: 0
	.section	.text._ZL11k_bin_bcastIXadL_ZL6op_mulffEE6__halffS0_JPKfEEvPKT0_PKT1_PT2_iii15HIP_vector_typeIjLj3EESC_SC_SC_SC_iiiiiiiiiiiDpT3_,"axG",@progbits,_ZL11k_bin_bcastIXadL_ZL6op_mulffEE6__halffS0_JPKfEEvPKT0_PKT1_PT2_iii15HIP_vector_typeIjLj3EESC_SC_SC_SC_iiiiiiiiiiiDpT3_,comdat
	.globl	_ZL11k_bin_bcastIXadL_ZL6op_mulffEE6__halffS0_JPKfEEvPKT0_PKT1_PT2_iii15HIP_vector_typeIjLj3EESC_SC_SC_SC_iiiiiiiiiiiDpT3_ ; -- Begin function _ZL11k_bin_bcastIXadL_ZL6op_mulffEE6__halffS0_JPKfEEvPKT0_PKT1_PT2_iii15HIP_vector_typeIjLj3EESC_SC_SC_SC_iiiiiiiiiiiDpT3_
	.p2align	8
	.type	_ZL11k_bin_bcastIXadL_ZL6op_mulffEE6__halffS0_JPKfEEvPKT0_PKT1_PT2_iii15HIP_vector_typeIjLj3EESC_SC_SC_SC_iiiiiiiiiiiDpT3_,@function
_ZL11k_bin_bcastIXadL_ZL6op_mulffEE6__halffS0_JPKfEEvPKT0_PKT1_PT2_iii15HIP_vector_typeIjLj3EESC_SC_SC_SC_iiiiiiiiiiiDpT3_: ; @_ZL11k_bin_bcastIXadL_ZL6op_mulffEE6__halffS0_JPKfEEvPKT0_PKT1_PT2_iii15HIP_vector_typeIjLj3EESC_SC_SC_SC_iiiiiiiiiiiDpT3_
; %bb.0:
	s_load_dwordx2 s[0:1], s[4:5], 0xa4
	s_load_dwordx8 s[12:19], s[4:5], 0x18
	s_add_u32 s2, s4, 0x98
	s_addc_u32 s3, s5, 0
	s_waitcnt lgkmcnt(0)
	s_and_b32 s1, s1, 0xffff
	s_mul_i32 s8, s8, s1
	v_add_u32_e32 v2, s8, v2
	v_mul_hi_u32 v3, v2, s15
	s_lshr_b32 s1, s0, 16
	s_and_b32 s8, s0, 0xffff
	s_mul_i32 s6, s6, s8
	v_add_u32_e32 v3, v2, v3
	v_lshrrev_b32_e32 v7, s16, v3
	v_mul_lo_u32 v4, v7, s17
	s_mul_i32 s7, s7, s1
	v_add_u32_e32 v0, s6, v0
	v_add_u32_e32 v3, s7, v1
	v_cmp_gt_u32_e32 vcc, s12, v0
	v_cmp_gt_u32_e64 s[0:1], s13, v3
	v_sub_u32_e32 v4, v2, v4
	s_and_b64 s[0:1], vcc, s[0:1]
	v_cmp_gt_u32_e32 vcc, s14, v7
	s_and_b64 s[0:1], s[0:1], vcc
	v_cmp_gt_u32_e32 vcc, s17, v4
	s_and_b64 s[0:1], s[0:1], vcc
	s_and_saveexec_b64 s[6:7], s[0:1]
	s_cbranch_execz .LBB29_6
; %bb.1:
	v_cmp_gt_i32_e32 vcc, s12, v0
	s_and_b64 exec, exec, vcc
	s_cbranch_execz .LBB29_6
; %bb.2:
	s_load_dwordx8 s[20:27], s[4:5], 0x60
	s_load_dword s9, s[2:3], 0x0
	s_load_dwordx2 s[6:7], s[4:5], 0x0
	s_load_dwordx8 s[36:43], s[4:5], 0x3c
	s_load_dword s13, s[4:5], 0x38
	s_load_dwordx2 s[10:11], s[4:5], 0x10
	s_nop 0
	s_load_dwordx4 s[0:3], s[4:5], 0x80
	s_load_dwordx2 s[14:15], s[4:5], 0x90
	s_waitcnt lgkmcnt(0)
	v_mul_lo_u32 v8, v4, s22
	v_mul_lo_u32 v9, v7, s21
	;; [unrolled: 1-line block ×4, first 2 shown]
	v_mul_hi_u32 v11, s42, v4
	s_load_dword s3, s[4:5], 0x5c
	v_add3_u32 v8, v9, v10, v8
	v_mul_hi_u32 v10, s39, v7
	v_add_u32_e32 v11, v4, v11
	v_mul_lo_u32 v1, v4, s26
	v_mul_lo_u32 v6, v3, s24
	v_add_u32_e32 v10, v7, v10
	v_lshrrev_b32_e32 v10, s40, v10
	v_mul_lo_u32 v10, v10, s41
	v_lshrrev_b32_e32 v11, s43, v11
	s_waitcnt lgkmcnt(0)
	v_mul_lo_u32 v11, v11, s3
	v_mov_b32_e32 v2, 0
	v_sub_u32_e32 v7, v7, v10
	v_mul_hi_u32 v10, s36, v3
	v_add3_u32 v1, v5, v6, v1
	v_lshlrev_b64 v[5:6], 1, v[1:2]
	v_sub_u32_e32 v4, v4, v11
	v_add_u32_e32 v10, v3, v10
	v_lshrrev_b32_e32 v10, s37, v10
	v_mul_lo_u32 v10, v10, s38
	v_mov_b32_e32 v9, v2
	v_mul_lo_u32 v12, v7, s1
	v_mul_lo_u32 v4, v4, s2
	v_sub_u32_e32 v3, v3, v10
	v_mul_lo_u32 v3, v3, s0
	v_mov_b32_e32 v1, s7
	v_add_co_u32_e32 v5, vcc, s6, v5
	v_lshlrev_b64 v[8:9], 1, v[8:9]
	v_addc_co_u32_e32 v6, vcc, v1, v6, vcc
	v_mov_b32_e32 v1, s11
	v_add_co_u32_e32 v7, vcc, s10, v8
	v_addc_co_u32_e32 v8, vcc, v1, v9, vcc
	v_add3_u32 v1, v12, v4, v3
	v_lshlrev_b64 v[3:4], 2, v[1:2]
	s_cmp_lg_u64 s[6:7], 0
	v_add_co_u32_e32 v9, vcc, s14, v3
	v_mul_lo_u32 v3, s23, v0
	s_cselect_b64 s[0:1], -1, 0
	v_mov_b32_e32 v1, s15
	v_addc_co_u32_e32 v10, vcc, v1, v4, vcc
	s_mul_i32 s6, s9, s8
	v_cndmask_b32_e64 v1, 0, 1, s[0:1]
	s_mov_b64 s[4:5], 0
	s_mul_i32 s7, s6, s23
	s_sub_i32 s8, 0, s13
	v_cmp_ne_u32_e64 s[0:1], 1, v1
	s_branch .LBB29_4
.LBB29_3:                               ;   in Loop: Header=BB29_4 Depth=1
	v_mul_hi_u32 v1, s18, v0
	v_add_u32_e32 v3, s7, v3
	v_add_u32_e32 v1, v0, v1
	v_lshrrev_b32_e32 v1, s19, v1
	v_mad_u64_u32 v[11:12], s[2:3], s8, v1, v[0:1]
	v_mul_lo_u32 v1, v11, s27
	v_lshlrev_b64 v[11:12], 2, v[1:2]
	v_ashrrev_i32_e32 v1, 31, v0
	v_add_co_u32_e32 v11, vcc, v9, v11
	v_addc_co_u32_e32 v12, vcc, v10, v12, vcc
	global_load_dword v13, v[11:12], off
	v_lshlrev_b64 v[11:12], 1, v[0:1]
	v_add_u32_e32 v0, s6, v0
	v_cmp_le_i32_e32 vcc, s12, v0
	v_add_co_u32_e64 v11, s[2:3], v7, v11
	v_addc_co_u32_e64 v12, s[2:3], v8, v12, s[2:3]
	s_or_b64 s[4:5], vcc, s[4:5]
	s_waitcnt vmcnt(0)
	v_fma_mixlo_f16 v1, v4, v13, 0
	global_store_short v[11:12], v1, off
	s_andn2_b64 exec, exec, s[4:5]
	s_cbranch_execz .LBB29_6
.LBB29_4:                               ; =>This Inner Loop Header: Depth=1
	s_and_b64 vcc, exec, s[0:1]
	v_mov_b32_e32 v4, 0
	s_cbranch_vccnz .LBB29_3
; %bb.5:                                ;   in Loop: Header=BB29_4 Depth=1
	v_ashrrev_i32_e32 v4, 31, v3
	v_lshlrev_b64 v[11:12], 1, v[3:4]
	v_add_co_u32_e32 v11, vcc, v5, v11
	v_addc_co_u32_e32 v12, vcc, v6, v12, vcc
	global_load_ushort v1, v[11:12], off
	s_waitcnt vmcnt(0)
	v_cvt_f32_f16_e32 v4, v1
	s_branch .LBB29_3
.LBB29_6:
	s_endpgm
	.section	.rodata,"a",@progbits
	.p2align	6, 0x0
	.amdhsa_kernel _ZL11k_bin_bcastIXadL_ZL6op_mulffEE6__halffS0_JPKfEEvPKT0_PKT1_PT2_iii15HIP_vector_typeIjLj3EESC_SC_SC_SC_iiiiiiiiiiiDpT3_
		.amdhsa_group_segment_fixed_size 0
		.amdhsa_private_segment_fixed_size 0
		.amdhsa_kernarg_size 408
		.amdhsa_user_sgpr_count 6
		.amdhsa_user_sgpr_private_segment_buffer 1
		.amdhsa_user_sgpr_dispatch_ptr 0
		.amdhsa_user_sgpr_queue_ptr 0
		.amdhsa_user_sgpr_kernarg_segment_ptr 1
		.amdhsa_user_sgpr_dispatch_id 0
		.amdhsa_user_sgpr_flat_scratch_init 0
		.amdhsa_user_sgpr_private_segment_size 0
		.amdhsa_uses_dynamic_stack 0
		.amdhsa_system_sgpr_private_segment_wavefront_offset 0
		.amdhsa_system_sgpr_workgroup_id_x 1
		.amdhsa_system_sgpr_workgroup_id_y 1
		.amdhsa_system_sgpr_workgroup_id_z 1
		.amdhsa_system_sgpr_workgroup_info 0
		.amdhsa_system_vgpr_workitem_id 2
		.amdhsa_next_free_vgpr 14
		.amdhsa_next_free_sgpr 44
		.amdhsa_reserve_vcc 1
		.amdhsa_reserve_flat_scratch 0
		.amdhsa_float_round_mode_32 0
		.amdhsa_float_round_mode_16_64 0
		.amdhsa_float_denorm_mode_32 3
		.amdhsa_float_denorm_mode_16_64 3
		.amdhsa_dx10_clamp 1
		.amdhsa_ieee_mode 1
		.amdhsa_fp16_overflow 0
		.amdhsa_exception_fp_ieee_invalid_op 0
		.amdhsa_exception_fp_denorm_src 0
		.amdhsa_exception_fp_ieee_div_zero 0
		.amdhsa_exception_fp_ieee_overflow 0
		.amdhsa_exception_fp_ieee_underflow 0
		.amdhsa_exception_fp_ieee_inexact 0
		.amdhsa_exception_int_div_zero 0
	.end_amdhsa_kernel
	.section	.text._ZL11k_bin_bcastIXadL_ZL6op_mulffEE6__halffS0_JPKfEEvPKT0_PKT1_PT2_iii15HIP_vector_typeIjLj3EESC_SC_SC_SC_iiiiiiiiiiiDpT3_,"axG",@progbits,_ZL11k_bin_bcastIXadL_ZL6op_mulffEE6__halffS0_JPKfEEvPKT0_PKT1_PT2_iii15HIP_vector_typeIjLj3EESC_SC_SC_SC_iiiiiiiiiiiDpT3_,comdat
.Lfunc_end29:
	.size	_ZL11k_bin_bcastIXadL_ZL6op_mulffEE6__halffS0_JPKfEEvPKT0_PKT1_PT2_iii15HIP_vector_typeIjLj3EESC_SC_SC_SC_iiiiiiiiiiiDpT3_, .Lfunc_end29-_ZL11k_bin_bcastIXadL_ZL6op_mulffEE6__halffS0_JPKfEEvPKT0_PKT1_PT2_iii15HIP_vector_typeIjLj3EESC_SC_SC_SC_iiiiiiiiiiiDpT3_
                                        ; -- End function
	.set _ZL11k_bin_bcastIXadL_ZL6op_mulffEE6__halffS0_JPKfEEvPKT0_PKT1_PT2_iii15HIP_vector_typeIjLj3EESC_SC_SC_SC_iiiiiiiiiiiDpT3_.num_vgpr, 14
	.set _ZL11k_bin_bcastIXadL_ZL6op_mulffEE6__halffS0_JPKfEEvPKT0_PKT1_PT2_iii15HIP_vector_typeIjLj3EESC_SC_SC_SC_iiiiiiiiiiiDpT3_.num_agpr, 0
	.set _ZL11k_bin_bcastIXadL_ZL6op_mulffEE6__halffS0_JPKfEEvPKT0_PKT1_PT2_iii15HIP_vector_typeIjLj3EESC_SC_SC_SC_iiiiiiiiiiiDpT3_.numbered_sgpr, 44
	.set _ZL11k_bin_bcastIXadL_ZL6op_mulffEE6__halffS0_JPKfEEvPKT0_PKT1_PT2_iii15HIP_vector_typeIjLj3EESC_SC_SC_SC_iiiiiiiiiiiDpT3_.num_named_barrier, 0
	.set _ZL11k_bin_bcastIXadL_ZL6op_mulffEE6__halffS0_JPKfEEvPKT0_PKT1_PT2_iii15HIP_vector_typeIjLj3EESC_SC_SC_SC_iiiiiiiiiiiDpT3_.private_seg_size, 0
	.set _ZL11k_bin_bcastIXadL_ZL6op_mulffEE6__halffS0_JPKfEEvPKT0_PKT1_PT2_iii15HIP_vector_typeIjLj3EESC_SC_SC_SC_iiiiiiiiiiiDpT3_.uses_vcc, 1
	.set _ZL11k_bin_bcastIXadL_ZL6op_mulffEE6__halffS0_JPKfEEvPKT0_PKT1_PT2_iii15HIP_vector_typeIjLj3EESC_SC_SC_SC_iiiiiiiiiiiDpT3_.uses_flat_scratch, 0
	.set _ZL11k_bin_bcastIXadL_ZL6op_mulffEE6__halffS0_JPKfEEvPKT0_PKT1_PT2_iii15HIP_vector_typeIjLj3EESC_SC_SC_SC_iiiiiiiiiiiDpT3_.has_dyn_sized_stack, 0
	.set _ZL11k_bin_bcastIXadL_ZL6op_mulffEE6__halffS0_JPKfEEvPKT0_PKT1_PT2_iii15HIP_vector_typeIjLj3EESC_SC_SC_SC_iiiiiiiiiiiDpT3_.has_recursion, 0
	.set _ZL11k_bin_bcastIXadL_ZL6op_mulffEE6__halffS0_JPKfEEvPKT0_PKT1_PT2_iii15HIP_vector_typeIjLj3EESC_SC_SC_SC_iiiiiiiiiiiDpT3_.has_indirect_call, 0
	.section	.AMDGPU.csdata,"",@progbits
; Kernel info:
; codeLenInByte = 724
; TotalNumSgprs: 48
; NumVgprs: 14
; ScratchSize: 0
; MemoryBound: 0
; FloatMode: 240
; IeeeMode: 1
; LDSByteSize: 0 bytes/workgroup (compile time only)
; SGPRBlocks: 5
; VGPRBlocks: 3
; NumSGPRsForWavesPerEU: 48
; NumVGPRsForWavesPerEU: 14
; Occupancy: 10
; WaveLimiterHint : 1
; COMPUTE_PGM_RSRC2:SCRATCH_EN: 0
; COMPUTE_PGM_RSRC2:USER_SGPR: 6
; COMPUTE_PGM_RSRC2:TRAP_HANDLER: 0
; COMPUTE_PGM_RSRC2:TGID_X_EN: 1
; COMPUTE_PGM_RSRC2:TGID_Y_EN: 1
; COMPUTE_PGM_RSRC2:TGID_Z_EN: 1
; COMPUTE_PGM_RSRC2:TIDIG_COMP_CNT: 2
	.section	.text._ZL19k_bin_bcast_unravelIXadL_ZL6op_mulffEE6__halfffJPKfEEvPKT0_PKT1_PT2_15HIP_vector_typeIjLj3EESC_SC_jSC_SC_SC_SC_SC_SC_iiiiiiiiiiiDpT3_,"axG",@progbits,_ZL19k_bin_bcast_unravelIXadL_ZL6op_mulffEE6__halfffJPKfEEvPKT0_PKT1_PT2_15HIP_vector_typeIjLj3EESC_SC_jSC_SC_SC_SC_SC_SC_iiiiiiiiiiiDpT3_,comdat
	.globl	_ZL19k_bin_bcast_unravelIXadL_ZL6op_mulffEE6__halfffJPKfEEvPKT0_PKT1_PT2_15HIP_vector_typeIjLj3EESC_SC_jSC_SC_SC_SC_SC_SC_iiiiiiiiiiiDpT3_ ; -- Begin function _ZL19k_bin_bcast_unravelIXadL_ZL6op_mulffEE6__halfffJPKfEEvPKT0_PKT1_PT2_15HIP_vector_typeIjLj3EESC_SC_jSC_SC_SC_SC_SC_SC_iiiiiiiiiiiDpT3_
	.p2align	8
	.type	_ZL19k_bin_bcast_unravelIXadL_ZL6op_mulffEE6__halfffJPKfEEvPKT0_PKT1_PT2_15HIP_vector_typeIjLj3EESC_SC_jSC_SC_SC_SC_SC_SC_iiiiiiiiiiiDpT3_,@function
_ZL19k_bin_bcast_unravelIXadL_ZL6op_mulffEE6__halfffJPKfEEvPKT0_PKT1_PT2_15HIP_vector_typeIjLj3EESC_SC_jSC_SC_SC_SC_SC_SC_iiiiiiiiiiiDpT3_: ; @_ZL19k_bin_bcast_unravelIXadL_ZL6op_mulffEE6__halfffJPKfEEvPKT0_PKT1_PT2_15HIP_vector_typeIjLj3EESC_SC_jSC_SC_SC_SC_SC_SC_iiiiiiiiiiiDpT3_
; %bb.0:
	s_load_dword s0, s[4:5], 0xcc
	s_load_dwordx8 s[8:15], s[4:5], 0x38
	s_waitcnt lgkmcnt(0)
	s_and_b32 s0, s0, 0xffff
	s_mul_i32 s6, s6, s0
	v_add_u32_e32 v0, s6, v0
	v_mul_hi_u32 v1, v0, s10
	s_load_dwordx4 s[0:3], s[4:5], 0x18
	s_waitcnt lgkmcnt(0)
	s_load_dword s3, s[4:5], 0x2c
	v_add_u32_e32 v1, v0, v1
	v_lshrrev_b32_e32 v1, s11, v1
	v_mul_lo_u32 v2, v1, s12
	v_sub_u32_e32 v0, v0, v2
	v_mul_hi_u32 v2, v0, s13
	v_add_u32_e32 v2, v0, v2
	v_lshrrev_b32_e32 v3, s14, v2
	v_mul_lo_u32 v2, v3, s15
	v_cmp_gt_u32_e32 vcc, s8, v3
	v_sub_u32_e32 v0, v0, v2
	v_mul_hi_u32 v2, v0, s0
	v_add_u32_e32 v2, v0, v2
	v_lshrrev_b32_e32 v4, s1, v2
	v_mul_lo_u32 v2, v4, s2
	s_waitcnt lgkmcnt(0)
	v_cmp_gt_u32_e64 s[0:1], s3, v4
	v_sub_u32_e32 v0, v0, v2
	v_cmp_gt_u32_e64 s[2:3], s2, v0
	s_and_b64 s[0:1], s[2:3], s[0:1]
	s_and_b64 s[0:1], s[0:1], vcc
	v_cmp_gt_u32_e32 vcc, s9, v1
	s_and_b64 s[0:1], vcc, s[0:1]
	s_and_saveexec_b64 s[2:3], s[0:1]
	s_cbranch_execz .LBB30_4
; %bb.1:
	s_load_dwordx2 s[6:7], s[4:5], 0x0
	s_load_dwordx4 s[0:3], s[4:5], 0xa8
	s_load_dwordx8 s[8:15], s[4:5], 0x88
	s_load_dwordx4 s[24:27], s[4:5], 0x78
	s_load_dwordx8 s[16:23], s[4:5], 0x58
	v_mov_b32_e32 v2, 0
	s_waitcnt lgkmcnt(0)
	s_cmp_eq_u64 s[6:7], 0
	v_mov_b32_e32 v5, 0
	s_cbranch_scc1 .LBB30_3
; %bb.2:
	v_mul_lo_u32 v5, v1, s14
	v_mul_lo_u32 v7, v3, s13
	v_mul_lo_u32 v8, v4, s12
	v_mov_b32_e32 v6, 0
	v_mov_b32_e32 v9, s7
	v_add3_u32 v5, v7, v5, v8
	v_lshlrev_b64 v[7:8], 1, v[5:6]
	v_mul_lo_u32 v5, v0, s11
	v_add_co_u32_e32 v7, vcc, s6, v7
	v_addc_co_u32_e32 v8, vcc, v9, v8, vcc
	v_lshlrev_b64 v[5:6], 1, v[5:6]
	v_add_co_u32_e32 v5, vcc, v7, v5
	v_addc_co_u32_e32 v6, vcc, v8, v6, vcc
	global_load_ushort v5, v[5:6], off
	s_waitcnt vmcnt(0)
	v_cvt_f32_f16_e32 v5, v5
.LBB30_3:
	v_mul_hi_u32 v6, s19, v4
	v_mul_hi_u32 v7, s22, v3
	;; [unrolled: 1-line block ×4, first 2 shown]
	v_add_u32_e32 v6, v4, v6
	v_add_u32_e32 v7, v3, v7
	;; [unrolled: 1-line block ×3, first 2 shown]
	v_lshrrev_b32_e32 v6, s20, v6
	v_lshrrev_b32_e32 v7, s23, v7
	v_lshrrev_b32_e32 v8, s26, v8
	v_mul_lo_u32 v6, v6, s21
	v_mul_lo_u32 v7, v7, s24
	;; [unrolled: 1-line block ×3, first 2 shown]
	v_add_u32_e32 v9, v0, v9
	v_lshrrev_b32_e32 v9, s17, v9
	v_mul_lo_u32 v9, v9, s18
	v_sub_u32_e32 v6, v4, v6
	v_sub_u32_e32 v7, v3, v7
	;; [unrolled: 1-line block ×3, first 2 shown]
	v_mul_lo_u32 v8, v8, s2
	v_mul_lo_u32 v7, v7, s1
	;; [unrolled: 1-line block ×3, first 2 shown]
	v_sub_u32_e32 v6, v0, v9
	v_mul_lo_u32 v6, v6, s15
	s_load_dwordx2 s[0:1], s[4:5], 0xb8
	v_add3_u32 v8, v7, v8, v10
	v_ashrrev_i32_e32 v9, 31, v8
	v_lshlrev_b64 v[8:9], 2, v[8:9]
	v_ashrrev_i32_e32 v7, 31, v6
	s_waitcnt lgkmcnt(0)
	v_mov_b32_e32 v10, s1
	v_add_co_u32_e32 v8, vcc, s0, v8
	v_lshlrev_b64 v[6:7], 2, v[6:7]
	v_addc_co_u32_e32 v9, vcc, v10, v9, vcc
	v_add_co_u32_e32 v6, vcc, v8, v6
	v_addc_co_u32_e32 v7, vcc, v9, v7, vcc
	global_load_dword v6, v[6:7], off
	v_mul_lo_u32 v7, v1, s10
	v_mul_lo_u32 v8, v3, s9
	v_mul_lo_u32 v9, v4, s8
	s_load_dwordx2 s[0:1], s[4:5], 0x10
	v_mov_b32_e32 v1, v2
	v_lshlrev_b64 v[3:4], 2, v[0:1]
	v_add3_u32 v1, v8, v7, v9
	v_lshlrev_b64 v[0:1], 2, v[1:2]
	s_waitcnt lgkmcnt(0)
	v_mov_b32_e32 v2, s1
	v_add_co_u32_e32 v0, vcc, s0, v0
	v_addc_co_u32_e32 v1, vcc, v2, v1, vcc
	v_add_co_u32_e32 v0, vcc, v0, v3
	v_addc_co_u32_e32 v1, vcc, v1, v4, vcc
	s_waitcnt vmcnt(0)
	v_mul_f32_e32 v2, v5, v6
	global_store_dword v[0:1], v2, off
.LBB30_4:
	s_endpgm
	.section	.rodata,"a",@progbits
	.p2align	6, 0x0
	.amdhsa_kernel _ZL19k_bin_bcast_unravelIXadL_ZL6op_mulffEE6__halfffJPKfEEvPKT0_PKT1_PT2_15HIP_vector_typeIjLj3EESC_SC_jSC_SC_SC_SC_SC_SC_iiiiiiiiiiiDpT3_
		.amdhsa_group_segment_fixed_size 0
		.amdhsa_private_segment_fixed_size 0
		.amdhsa_kernarg_size 448
		.amdhsa_user_sgpr_count 6
		.amdhsa_user_sgpr_private_segment_buffer 1
		.amdhsa_user_sgpr_dispatch_ptr 0
		.amdhsa_user_sgpr_queue_ptr 0
		.amdhsa_user_sgpr_kernarg_segment_ptr 1
		.amdhsa_user_sgpr_dispatch_id 0
		.amdhsa_user_sgpr_flat_scratch_init 0
		.amdhsa_user_sgpr_private_segment_size 0
		.amdhsa_uses_dynamic_stack 0
		.amdhsa_system_sgpr_private_segment_wavefront_offset 0
		.amdhsa_system_sgpr_workgroup_id_x 1
		.amdhsa_system_sgpr_workgroup_id_y 0
		.amdhsa_system_sgpr_workgroup_id_z 0
		.amdhsa_system_sgpr_workgroup_info 0
		.amdhsa_system_vgpr_workitem_id 0
		.amdhsa_next_free_vgpr 11
		.amdhsa_next_free_sgpr 28
		.amdhsa_reserve_vcc 1
		.amdhsa_reserve_flat_scratch 0
		.amdhsa_float_round_mode_32 0
		.amdhsa_float_round_mode_16_64 0
		.amdhsa_float_denorm_mode_32 3
		.amdhsa_float_denorm_mode_16_64 3
		.amdhsa_dx10_clamp 1
		.amdhsa_ieee_mode 1
		.amdhsa_fp16_overflow 0
		.amdhsa_exception_fp_ieee_invalid_op 0
		.amdhsa_exception_fp_denorm_src 0
		.amdhsa_exception_fp_ieee_div_zero 0
		.amdhsa_exception_fp_ieee_overflow 0
		.amdhsa_exception_fp_ieee_underflow 0
		.amdhsa_exception_fp_ieee_inexact 0
		.amdhsa_exception_int_div_zero 0
	.end_amdhsa_kernel
	.section	.text._ZL19k_bin_bcast_unravelIXadL_ZL6op_mulffEE6__halfffJPKfEEvPKT0_PKT1_PT2_15HIP_vector_typeIjLj3EESC_SC_jSC_SC_SC_SC_SC_SC_iiiiiiiiiiiDpT3_,"axG",@progbits,_ZL19k_bin_bcast_unravelIXadL_ZL6op_mulffEE6__halfffJPKfEEvPKT0_PKT1_PT2_15HIP_vector_typeIjLj3EESC_SC_jSC_SC_SC_SC_SC_SC_iiiiiiiiiiiDpT3_,comdat
.Lfunc_end30:
	.size	_ZL19k_bin_bcast_unravelIXadL_ZL6op_mulffEE6__halfffJPKfEEvPKT0_PKT1_PT2_15HIP_vector_typeIjLj3EESC_SC_jSC_SC_SC_SC_SC_SC_iiiiiiiiiiiDpT3_, .Lfunc_end30-_ZL19k_bin_bcast_unravelIXadL_ZL6op_mulffEE6__halfffJPKfEEvPKT0_PKT1_PT2_15HIP_vector_typeIjLj3EESC_SC_jSC_SC_SC_SC_SC_SC_iiiiiiiiiiiDpT3_
                                        ; -- End function
	.set _ZL19k_bin_bcast_unravelIXadL_ZL6op_mulffEE6__halfffJPKfEEvPKT0_PKT1_PT2_15HIP_vector_typeIjLj3EESC_SC_jSC_SC_SC_SC_SC_SC_iiiiiiiiiiiDpT3_.num_vgpr, 11
	.set _ZL19k_bin_bcast_unravelIXadL_ZL6op_mulffEE6__halfffJPKfEEvPKT0_PKT1_PT2_15HIP_vector_typeIjLj3EESC_SC_jSC_SC_SC_SC_SC_SC_iiiiiiiiiiiDpT3_.num_agpr, 0
	.set _ZL19k_bin_bcast_unravelIXadL_ZL6op_mulffEE6__halfffJPKfEEvPKT0_PKT1_PT2_15HIP_vector_typeIjLj3EESC_SC_jSC_SC_SC_SC_SC_SC_iiiiiiiiiiiDpT3_.numbered_sgpr, 28
	.set _ZL19k_bin_bcast_unravelIXadL_ZL6op_mulffEE6__halfffJPKfEEvPKT0_PKT1_PT2_15HIP_vector_typeIjLj3EESC_SC_jSC_SC_SC_SC_SC_SC_iiiiiiiiiiiDpT3_.num_named_barrier, 0
	.set _ZL19k_bin_bcast_unravelIXadL_ZL6op_mulffEE6__halfffJPKfEEvPKT0_PKT1_PT2_15HIP_vector_typeIjLj3EESC_SC_jSC_SC_SC_SC_SC_SC_iiiiiiiiiiiDpT3_.private_seg_size, 0
	.set _ZL19k_bin_bcast_unravelIXadL_ZL6op_mulffEE6__halfffJPKfEEvPKT0_PKT1_PT2_15HIP_vector_typeIjLj3EESC_SC_jSC_SC_SC_SC_SC_SC_iiiiiiiiiiiDpT3_.uses_vcc, 1
	.set _ZL19k_bin_bcast_unravelIXadL_ZL6op_mulffEE6__halfffJPKfEEvPKT0_PKT1_PT2_15HIP_vector_typeIjLj3EESC_SC_jSC_SC_SC_SC_SC_SC_iiiiiiiiiiiDpT3_.uses_flat_scratch, 0
	.set _ZL19k_bin_bcast_unravelIXadL_ZL6op_mulffEE6__halfffJPKfEEvPKT0_PKT1_PT2_15HIP_vector_typeIjLj3EESC_SC_jSC_SC_SC_SC_SC_SC_iiiiiiiiiiiDpT3_.has_dyn_sized_stack, 0
	.set _ZL19k_bin_bcast_unravelIXadL_ZL6op_mulffEE6__halfffJPKfEEvPKT0_PKT1_PT2_15HIP_vector_typeIjLj3EESC_SC_jSC_SC_SC_SC_SC_SC_iiiiiiiiiiiDpT3_.has_recursion, 0
	.set _ZL19k_bin_bcast_unravelIXadL_ZL6op_mulffEE6__halfffJPKfEEvPKT0_PKT1_PT2_15HIP_vector_typeIjLj3EESC_SC_jSC_SC_SC_SC_SC_SC_iiiiiiiiiiiDpT3_.has_indirect_call, 0
	.section	.AMDGPU.csdata,"",@progbits
; Kernel info:
; codeLenInByte = 664
; TotalNumSgprs: 32
; NumVgprs: 11
; ScratchSize: 0
; MemoryBound: 0
; FloatMode: 240
; IeeeMode: 1
; LDSByteSize: 0 bytes/workgroup (compile time only)
; SGPRBlocks: 3
; VGPRBlocks: 2
; NumSGPRsForWavesPerEU: 32
; NumVGPRsForWavesPerEU: 11
; Occupancy: 10
; WaveLimiterHint : 1
; COMPUTE_PGM_RSRC2:SCRATCH_EN: 0
; COMPUTE_PGM_RSRC2:USER_SGPR: 6
; COMPUTE_PGM_RSRC2:TRAP_HANDLER: 0
; COMPUTE_PGM_RSRC2:TGID_X_EN: 1
; COMPUTE_PGM_RSRC2:TGID_Y_EN: 0
; COMPUTE_PGM_RSRC2:TGID_Z_EN: 0
; COMPUTE_PGM_RSRC2:TIDIG_COMP_CNT: 0
	.section	.text._ZL11k_bin_bcastIXadL_ZL6op_mulffEE6__halfffJPKfEEvPKT0_PKT1_PT2_iii15HIP_vector_typeIjLj3EESC_SC_SC_SC_iiiiiiiiiiiDpT3_,"axG",@progbits,_ZL11k_bin_bcastIXadL_ZL6op_mulffEE6__halfffJPKfEEvPKT0_PKT1_PT2_iii15HIP_vector_typeIjLj3EESC_SC_SC_SC_iiiiiiiiiiiDpT3_,comdat
	.globl	_ZL11k_bin_bcastIXadL_ZL6op_mulffEE6__halfffJPKfEEvPKT0_PKT1_PT2_iii15HIP_vector_typeIjLj3EESC_SC_SC_SC_iiiiiiiiiiiDpT3_ ; -- Begin function _ZL11k_bin_bcastIXadL_ZL6op_mulffEE6__halfffJPKfEEvPKT0_PKT1_PT2_iii15HIP_vector_typeIjLj3EESC_SC_SC_SC_iiiiiiiiiiiDpT3_
	.p2align	8
	.type	_ZL11k_bin_bcastIXadL_ZL6op_mulffEE6__halfffJPKfEEvPKT0_PKT1_PT2_iii15HIP_vector_typeIjLj3EESC_SC_SC_SC_iiiiiiiiiiiDpT3_,@function
_ZL11k_bin_bcastIXadL_ZL6op_mulffEE6__halfffJPKfEEvPKT0_PKT1_PT2_iii15HIP_vector_typeIjLj3EESC_SC_SC_SC_iiiiiiiiiiiDpT3_: ; @_ZL11k_bin_bcastIXadL_ZL6op_mulffEE6__halfffJPKfEEvPKT0_PKT1_PT2_iii15HIP_vector_typeIjLj3EESC_SC_SC_SC_iiiiiiiiiiiDpT3_
; %bb.0:
	s_load_dwordx2 s[0:1], s[4:5], 0xa4
	s_load_dwordx8 s[12:19], s[4:5], 0x18
	s_add_u32 s2, s4, 0x98
	s_addc_u32 s3, s5, 0
	s_waitcnt lgkmcnt(0)
	s_and_b32 s1, s1, 0xffff
	s_mul_i32 s8, s8, s1
	v_add_u32_e32 v2, s8, v2
	v_mul_hi_u32 v3, v2, s15
	s_lshr_b32 s1, s0, 16
	s_and_b32 s8, s0, 0xffff
	s_mul_i32 s6, s6, s8
	v_add_u32_e32 v3, v2, v3
	v_lshrrev_b32_e32 v7, s16, v3
	v_mul_lo_u32 v4, v7, s17
	s_mul_i32 s7, s7, s1
	v_add_u32_e32 v0, s6, v0
	v_add_u32_e32 v3, s7, v1
	v_cmp_gt_u32_e32 vcc, s12, v0
	v_cmp_gt_u32_e64 s[0:1], s13, v3
	v_sub_u32_e32 v4, v2, v4
	s_and_b64 s[0:1], vcc, s[0:1]
	v_cmp_gt_u32_e32 vcc, s14, v7
	s_and_b64 s[0:1], s[0:1], vcc
	v_cmp_gt_u32_e32 vcc, s17, v4
	s_and_b64 s[0:1], s[0:1], vcc
	s_and_saveexec_b64 s[6:7], s[0:1]
	s_cbranch_execz .LBB31_6
; %bb.1:
	v_cmp_gt_i32_e32 vcc, s12, v0
	s_and_b64 exec, exec, vcc
	s_cbranch_execz .LBB31_6
; %bb.2:
	s_load_dwordx8 s[20:27], s[4:5], 0x60
	s_load_dword s9, s[2:3], 0x0
	s_load_dwordx2 s[6:7], s[4:5], 0x0
	s_load_dwordx8 s[36:43], s[4:5], 0x3c
	s_load_dword s13, s[4:5], 0x38
	s_load_dwordx2 s[10:11], s[4:5], 0x10
	s_nop 0
	s_load_dwordx4 s[0:3], s[4:5], 0x80
	s_load_dwordx2 s[14:15], s[4:5], 0x90
	s_waitcnt lgkmcnt(0)
	v_mul_lo_u32 v8, v4, s22
	v_mul_lo_u32 v9, v7, s21
	;; [unrolled: 1-line block ×4, first 2 shown]
	v_mul_hi_u32 v11, s42, v4
	s_load_dword s3, s[4:5], 0x5c
	v_add3_u32 v8, v9, v10, v8
	v_mul_hi_u32 v10, s39, v7
	v_add_u32_e32 v11, v4, v11
	v_mul_lo_u32 v1, v4, s26
	v_mul_lo_u32 v6, v3, s24
	v_add_u32_e32 v10, v7, v10
	v_lshrrev_b32_e32 v10, s40, v10
	v_mul_lo_u32 v10, v10, s41
	v_lshrrev_b32_e32 v11, s43, v11
	s_waitcnt lgkmcnt(0)
	v_mul_lo_u32 v11, v11, s3
	v_mov_b32_e32 v2, 0
	v_sub_u32_e32 v7, v7, v10
	v_mul_hi_u32 v10, s36, v3
	v_add3_u32 v1, v5, v6, v1
	v_lshlrev_b64 v[5:6], 1, v[1:2]
	v_sub_u32_e32 v4, v4, v11
	v_add_u32_e32 v10, v3, v10
	v_lshrrev_b32_e32 v10, s37, v10
	v_mul_lo_u32 v10, v10, s38
	v_mov_b32_e32 v9, v2
	v_mul_lo_u32 v12, v7, s1
	v_mul_lo_u32 v4, v4, s2
	v_sub_u32_e32 v3, v3, v10
	v_mul_lo_u32 v3, v3, s0
	v_mov_b32_e32 v1, s7
	v_add_co_u32_e32 v5, vcc, s6, v5
	v_lshlrev_b64 v[8:9], 2, v[8:9]
	v_addc_co_u32_e32 v6, vcc, v1, v6, vcc
	v_mov_b32_e32 v1, s11
	v_add_co_u32_e32 v7, vcc, s10, v8
	v_addc_co_u32_e32 v8, vcc, v1, v9, vcc
	v_add3_u32 v1, v12, v4, v3
	v_lshlrev_b64 v[3:4], 2, v[1:2]
	s_cmp_lg_u64 s[6:7], 0
	v_add_co_u32_e32 v9, vcc, s14, v3
	v_mul_lo_u32 v3, s23, v0
	s_cselect_b64 s[0:1], -1, 0
	v_mov_b32_e32 v1, s15
	v_addc_co_u32_e32 v10, vcc, v1, v4, vcc
	s_mul_i32 s6, s9, s8
	v_cndmask_b32_e64 v1, 0, 1, s[0:1]
	s_mov_b64 s[4:5], 0
	s_mul_i32 s7, s6, s23
	s_sub_i32 s8, 0, s13
	v_cmp_ne_u32_e64 s[0:1], 1, v1
	s_branch .LBB31_4
.LBB31_3:                               ;   in Loop: Header=BB31_4 Depth=1
	v_mul_hi_u32 v1, s18, v0
	v_add_u32_e32 v3, s7, v3
	v_add_u32_e32 v1, v0, v1
	v_lshrrev_b32_e32 v1, s19, v1
	v_mad_u64_u32 v[11:12], s[2:3], s8, v1, v[0:1]
	v_mul_lo_u32 v1, v11, s27
	v_lshlrev_b64 v[11:12], 2, v[1:2]
	v_ashrrev_i32_e32 v1, 31, v0
	v_add_co_u32_e32 v11, vcc, v9, v11
	v_addc_co_u32_e32 v12, vcc, v10, v12, vcc
	global_load_dword v13, v[11:12], off
	v_lshlrev_b64 v[11:12], 2, v[0:1]
	v_add_u32_e32 v0, s6, v0
	v_cmp_le_i32_e32 vcc, s12, v0
	v_add_co_u32_e64 v11, s[2:3], v7, v11
	v_addc_co_u32_e64 v12, s[2:3], v8, v12, s[2:3]
	s_or_b64 s[4:5], vcc, s[4:5]
	s_waitcnt vmcnt(0)
	v_mul_f32_e32 v1, v4, v13
	global_store_dword v[11:12], v1, off
	s_andn2_b64 exec, exec, s[4:5]
	s_cbranch_execz .LBB31_6
.LBB31_4:                               ; =>This Inner Loop Header: Depth=1
	s_and_b64 vcc, exec, s[0:1]
	v_mov_b32_e32 v4, 0
	s_cbranch_vccnz .LBB31_3
; %bb.5:                                ;   in Loop: Header=BB31_4 Depth=1
	v_ashrrev_i32_e32 v4, 31, v3
	v_lshlrev_b64 v[11:12], 1, v[3:4]
	v_add_co_u32_e32 v11, vcc, v5, v11
	v_addc_co_u32_e32 v12, vcc, v6, v12, vcc
	global_load_ushort v1, v[11:12], off
	s_waitcnt vmcnt(0)
	v_cvt_f32_f16_e32 v4, v1
	s_branch .LBB31_3
.LBB31_6:
	s_endpgm
	.section	.rodata,"a",@progbits
	.p2align	6, 0x0
	.amdhsa_kernel _ZL11k_bin_bcastIXadL_ZL6op_mulffEE6__halfffJPKfEEvPKT0_PKT1_PT2_iii15HIP_vector_typeIjLj3EESC_SC_SC_SC_iiiiiiiiiiiDpT3_
		.amdhsa_group_segment_fixed_size 0
		.amdhsa_private_segment_fixed_size 0
		.amdhsa_kernarg_size 408
		.amdhsa_user_sgpr_count 6
		.amdhsa_user_sgpr_private_segment_buffer 1
		.amdhsa_user_sgpr_dispatch_ptr 0
		.amdhsa_user_sgpr_queue_ptr 0
		.amdhsa_user_sgpr_kernarg_segment_ptr 1
		.amdhsa_user_sgpr_dispatch_id 0
		.amdhsa_user_sgpr_flat_scratch_init 0
		.amdhsa_user_sgpr_private_segment_size 0
		.amdhsa_uses_dynamic_stack 0
		.amdhsa_system_sgpr_private_segment_wavefront_offset 0
		.amdhsa_system_sgpr_workgroup_id_x 1
		.amdhsa_system_sgpr_workgroup_id_y 1
		.amdhsa_system_sgpr_workgroup_id_z 1
		.amdhsa_system_sgpr_workgroup_info 0
		.amdhsa_system_vgpr_workitem_id 2
		.amdhsa_next_free_vgpr 14
		.amdhsa_next_free_sgpr 44
		.amdhsa_reserve_vcc 1
		.amdhsa_reserve_flat_scratch 0
		.amdhsa_float_round_mode_32 0
		.amdhsa_float_round_mode_16_64 0
		.amdhsa_float_denorm_mode_32 3
		.amdhsa_float_denorm_mode_16_64 3
		.amdhsa_dx10_clamp 1
		.amdhsa_ieee_mode 1
		.amdhsa_fp16_overflow 0
		.amdhsa_exception_fp_ieee_invalid_op 0
		.amdhsa_exception_fp_denorm_src 0
		.amdhsa_exception_fp_ieee_div_zero 0
		.amdhsa_exception_fp_ieee_overflow 0
		.amdhsa_exception_fp_ieee_underflow 0
		.amdhsa_exception_fp_ieee_inexact 0
		.amdhsa_exception_int_div_zero 0
	.end_amdhsa_kernel
	.section	.text._ZL11k_bin_bcastIXadL_ZL6op_mulffEE6__halfffJPKfEEvPKT0_PKT1_PT2_iii15HIP_vector_typeIjLj3EESC_SC_SC_SC_iiiiiiiiiiiDpT3_,"axG",@progbits,_ZL11k_bin_bcastIXadL_ZL6op_mulffEE6__halfffJPKfEEvPKT0_PKT1_PT2_iii15HIP_vector_typeIjLj3EESC_SC_SC_SC_iiiiiiiiiiiDpT3_,comdat
.Lfunc_end31:
	.size	_ZL11k_bin_bcastIXadL_ZL6op_mulffEE6__halfffJPKfEEvPKT0_PKT1_PT2_iii15HIP_vector_typeIjLj3EESC_SC_SC_SC_iiiiiiiiiiiDpT3_, .Lfunc_end31-_ZL11k_bin_bcastIXadL_ZL6op_mulffEE6__halfffJPKfEEvPKT0_PKT1_PT2_iii15HIP_vector_typeIjLj3EESC_SC_SC_SC_iiiiiiiiiiiDpT3_
                                        ; -- End function
	.set _ZL11k_bin_bcastIXadL_ZL6op_mulffEE6__halfffJPKfEEvPKT0_PKT1_PT2_iii15HIP_vector_typeIjLj3EESC_SC_SC_SC_iiiiiiiiiiiDpT3_.num_vgpr, 14
	.set _ZL11k_bin_bcastIXadL_ZL6op_mulffEE6__halfffJPKfEEvPKT0_PKT1_PT2_iii15HIP_vector_typeIjLj3EESC_SC_SC_SC_iiiiiiiiiiiDpT3_.num_agpr, 0
	.set _ZL11k_bin_bcastIXadL_ZL6op_mulffEE6__halfffJPKfEEvPKT0_PKT1_PT2_iii15HIP_vector_typeIjLj3EESC_SC_SC_SC_iiiiiiiiiiiDpT3_.numbered_sgpr, 44
	.set _ZL11k_bin_bcastIXadL_ZL6op_mulffEE6__halfffJPKfEEvPKT0_PKT1_PT2_iii15HIP_vector_typeIjLj3EESC_SC_SC_SC_iiiiiiiiiiiDpT3_.num_named_barrier, 0
	.set _ZL11k_bin_bcastIXadL_ZL6op_mulffEE6__halfffJPKfEEvPKT0_PKT1_PT2_iii15HIP_vector_typeIjLj3EESC_SC_SC_SC_iiiiiiiiiiiDpT3_.private_seg_size, 0
	.set _ZL11k_bin_bcastIXadL_ZL6op_mulffEE6__halfffJPKfEEvPKT0_PKT1_PT2_iii15HIP_vector_typeIjLj3EESC_SC_SC_SC_iiiiiiiiiiiDpT3_.uses_vcc, 1
	.set _ZL11k_bin_bcastIXadL_ZL6op_mulffEE6__halfffJPKfEEvPKT0_PKT1_PT2_iii15HIP_vector_typeIjLj3EESC_SC_SC_SC_iiiiiiiiiiiDpT3_.uses_flat_scratch, 0
	.set _ZL11k_bin_bcastIXadL_ZL6op_mulffEE6__halfffJPKfEEvPKT0_PKT1_PT2_iii15HIP_vector_typeIjLj3EESC_SC_SC_SC_iiiiiiiiiiiDpT3_.has_dyn_sized_stack, 0
	.set _ZL11k_bin_bcastIXadL_ZL6op_mulffEE6__halfffJPKfEEvPKT0_PKT1_PT2_iii15HIP_vector_typeIjLj3EESC_SC_SC_SC_iiiiiiiiiiiDpT3_.has_recursion, 0
	.set _ZL11k_bin_bcastIXadL_ZL6op_mulffEE6__halfffJPKfEEvPKT0_PKT1_PT2_iii15HIP_vector_typeIjLj3EESC_SC_SC_SC_iiiiiiiiiiiDpT3_.has_indirect_call, 0
	.section	.AMDGPU.csdata,"",@progbits
; Kernel info:
; codeLenInByte = 720
; TotalNumSgprs: 48
; NumVgprs: 14
; ScratchSize: 0
; MemoryBound: 0
; FloatMode: 240
; IeeeMode: 1
; LDSByteSize: 0 bytes/workgroup (compile time only)
; SGPRBlocks: 5
; VGPRBlocks: 3
; NumSGPRsForWavesPerEU: 48
; NumVGPRsForWavesPerEU: 14
; Occupancy: 10
; WaveLimiterHint : 1
; COMPUTE_PGM_RSRC2:SCRATCH_EN: 0
; COMPUTE_PGM_RSRC2:USER_SGPR: 6
; COMPUTE_PGM_RSRC2:TRAP_HANDLER: 0
; COMPUTE_PGM_RSRC2:TGID_X_EN: 1
; COMPUTE_PGM_RSRC2:TGID_Y_EN: 1
; COMPUTE_PGM_RSRC2:TGID_Z_EN: 1
; COMPUTE_PGM_RSRC2:TIDIG_COMP_CNT: 2
	.section	.text._ZL19k_bin_bcast_unravelIXadL_ZL6op_divffEEfffJPKfEEvPKT0_PKT1_PT2_15HIP_vector_typeIjLj3EESB_SB_jSB_SB_SB_SB_SB_SB_iiiiiiiiiiiDpT3_,"axG",@progbits,_ZL19k_bin_bcast_unravelIXadL_ZL6op_divffEEfffJPKfEEvPKT0_PKT1_PT2_15HIP_vector_typeIjLj3EESB_SB_jSB_SB_SB_SB_SB_SB_iiiiiiiiiiiDpT3_,comdat
	.globl	_ZL19k_bin_bcast_unravelIXadL_ZL6op_divffEEfffJPKfEEvPKT0_PKT1_PT2_15HIP_vector_typeIjLj3EESB_SB_jSB_SB_SB_SB_SB_SB_iiiiiiiiiiiDpT3_ ; -- Begin function _ZL19k_bin_bcast_unravelIXadL_ZL6op_divffEEfffJPKfEEvPKT0_PKT1_PT2_15HIP_vector_typeIjLj3EESB_SB_jSB_SB_SB_SB_SB_SB_iiiiiiiiiiiDpT3_
	.p2align	8
	.type	_ZL19k_bin_bcast_unravelIXadL_ZL6op_divffEEfffJPKfEEvPKT0_PKT1_PT2_15HIP_vector_typeIjLj3EESB_SB_jSB_SB_SB_SB_SB_SB_iiiiiiiiiiiDpT3_,@function
_ZL19k_bin_bcast_unravelIXadL_ZL6op_divffEEfffJPKfEEvPKT0_PKT1_PT2_15HIP_vector_typeIjLj3EESB_SB_jSB_SB_SB_SB_SB_SB_iiiiiiiiiiiDpT3_: ; @_ZL19k_bin_bcast_unravelIXadL_ZL6op_divffEEfffJPKfEEvPKT0_PKT1_PT2_15HIP_vector_typeIjLj3EESB_SB_jSB_SB_SB_SB_SB_SB_iiiiiiiiiiiDpT3_
; %bb.0:
	s_load_dword s0, s[4:5], 0xcc
	s_load_dwordx8 s[8:15], s[4:5], 0x38
	s_waitcnt lgkmcnt(0)
	s_and_b32 s0, s0, 0xffff
	s_mul_i32 s6, s6, s0
	v_add_u32_e32 v0, s6, v0
	v_mul_hi_u32 v1, v0, s10
	s_load_dwordx4 s[0:3], s[4:5], 0x18
	s_waitcnt lgkmcnt(0)
	s_load_dword s3, s[4:5], 0x2c
	v_add_u32_e32 v1, v0, v1
	v_lshrrev_b32_e32 v1, s11, v1
	v_mul_lo_u32 v2, v1, s12
	v_sub_u32_e32 v0, v0, v2
	v_mul_hi_u32 v2, v0, s13
	v_add_u32_e32 v2, v0, v2
	v_lshrrev_b32_e32 v3, s14, v2
	v_mul_lo_u32 v2, v3, s15
	v_cmp_gt_u32_e32 vcc, s8, v3
	v_sub_u32_e32 v0, v0, v2
	v_mul_hi_u32 v2, v0, s0
	v_add_u32_e32 v2, v0, v2
	v_lshrrev_b32_e32 v4, s1, v2
	v_mul_lo_u32 v2, v4, s2
	s_waitcnt lgkmcnt(0)
	v_cmp_gt_u32_e64 s[0:1], s3, v4
	v_sub_u32_e32 v0, v0, v2
	v_cmp_gt_u32_e64 s[2:3], s2, v0
	s_and_b64 s[0:1], s[2:3], s[0:1]
	s_and_b64 s[0:1], s[0:1], vcc
	v_cmp_gt_u32_e32 vcc, s9, v1
	s_and_b64 s[0:1], vcc, s[0:1]
	s_and_saveexec_b64 s[2:3], s[0:1]
	s_cbranch_execz .LBB32_4
; %bb.1:
	s_load_dwordx2 s[6:7], s[4:5], 0x0
	s_load_dwordx4 s[0:3], s[4:5], 0xa8
	s_load_dwordx8 s[8:15], s[4:5], 0x88
	s_load_dwordx4 s[24:27], s[4:5], 0x78
	s_load_dwordx8 s[16:23], s[4:5], 0x58
	v_mov_b32_e32 v2, 0
	s_waitcnt lgkmcnt(0)
	s_cmp_eq_u64 s[6:7], 0
	v_mov_b32_e32 v5, 0
	s_cbranch_scc1 .LBB32_3
; %bb.2:
	v_mul_lo_u32 v5, v1, s14
	v_mul_lo_u32 v7, v3, s13
	;; [unrolled: 1-line block ×3, first 2 shown]
	v_mov_b32_e32 v6, 0
	v_mov_b32_e32 v9, s7
	v_add3_u32 v5, v7, v5, v8
	v_lshlrev_b64 v[7:8], 2, v[5:6]
	v_mul_lo_u32 v5, v0, s11
	v_add_co_u32_e32 v7, vcc, s6, v7
	v_addc_co_u32_e32 v8, vcc, v9, v8, vcc
	v_lshlrev_b64 v[5:6], 2, v[5:6]
	v_add_co_u32_e32 v5, vcc, v7, v5
	v_addc_co_u32_e32 v6, vcc, v8, v6, vcc
	global_load_dword v5, v[5:6], off
.LBB32_3:
	v_mul_hi_u32 v6, s19, v4
	v_mul_hi_u32 v7, s22, v3
	;; [unrolled: 1-line block ×4, first 2 shown]
	v_add_u32_e32 v6, v4, v6
	v_add_u32_e32 v7, v3, v7
	;; [unrolled: 1-line block ×3, first 2 shown]
	v_lshrrev_b32_e32 v6, s20, v6
	v_lshrrev_b32_e32 v7, s23, v7
	;; [unrolled: 1-line block ×3, first 2 shown]
	v_mul_lo_u32 v6, v6, s21
	v_mul_lo_u32 v7, v7, s24
	v_mul_lo_u32 v8, v8, s27
	v_add_u32_e32 v9, v0, v9
	v_lshrrev_b32_e32 v9, s17, v9
	v_mul_lo_u32 v9, v9, s18
	v_sub_u32_e32 v6, v4, v6
	v_sub_u32_e32 v7, v3, v7
	;; [unrolled: 1-line block ×3, first 2 shown]
	v_mul_lo_u32 v8, v8, s2
	v_mul_lo_u32 v7, v7, s1
	;; [unrolled: 1-line block ×3, first 2 shown]
	v_sub_u32_e32 v6, v0, v9
	v_mul_lo_u32 v6, v6, s15
	s_load_dwordx2 s[0:1], s[4:5], 0xb8
	v_add3_u32 v8, v7, v8, v10
	v_ashrrev_i32_e32 v9, 31, v8
	v_lshlrev_b64 v[8:9], 2, v[8:9]
	v_ashrrev_i32_e32 v7, 31, v6
	s_waitcnt lgkmcnt(0)
	v_mov_b32_e32 v10, s1
	v_add_co_u32_e32 v8, vcc, s0, v8
	v_lshlrev_b64 v[6:7], 2, v[6:7]
	v_addc_co_u32_e32 v9, vcc, v10, v9, vcc
	v_add_co_u32_e32 v6, vcc, v8, v6
	v_addc_co_u32_e32 v7, vcc, v9, v7, vcc
	global_load_dword v6, v[6:7], off
	s_waitcnt vmcnt(0)
	v_div_scale_f32 v7, s[0:1], v6, v6, v5
	v_div_scale_f32 v8, vcc, v5, v6, v5
	s_load_dwordx2 s[0:1], s[4:5], 0x10
	v_rcp_f32_e32 v9, v7
	v_fma_f32 v10, -v7, v9, 1.0
	v_fmac_f32_e32 v9, v10, v9
	v_mul_f32_e32 v10, v8, v9
	v_fma_f32 v11, -v7, v10, v8
	v_fmac_f32_e32 v10, v11, v9
	v_fma_f32 v7, -v7, v10, v8
	v_div_fmas_f32 v7, v7, v9, v10
	v_mul_lo_u32 v8, v1, s10
	v_mul_lo_u32 v9, v3, s9
	;; [unrolled: 1-line block ×3, first 2 shown]
	v_mov_b32_e32 v1, v2
	v_lshlrev_b64 v[3:4], 2, v[0:1]
	v_add3_u32 v1, v9, v8, v10
	v_lshlrev_b64 v[0:1], 2, v[1:2]
	s_waitcnt lgkmcnt(0)
	v_mov_b32_e32 v2, s1
	v_add_co_u32_e32 v0, vcc, s0, v0
	v_addc_co_u32_e32 v1, vcc, v2, v1, vcc
	v_add_co_u32_e32 v0, vcc, v0, v3
	v_div_fixup_f32 v2, v7, v6, v5
	v_addc_co_u32_e32 v1, vcc, v1, v4, vcc
	global_store_dword v[0:1], v2, off
.LBB32_4:
	s_endpgm
	.section	.rodata,"a",@progbits
	.p2align	6, 0x0
	.amdhsa_kernel _ZL19k_bin_bcast_unravelIXadL_ZL6op_divffEEfffJPKfEEvPKT0_PKT1_PT2_15HIP_vector_typeIjLj3EESB_SB_jSB_SB_SB_SB_SB_SB_iiiiiiiiiiiDpT3_
		.amdhsa_group_segment_fixed_size 0
		.amdhsa_private_segment_fixed_size 0
		.amdhsa_kernarg_size 448
		.amdhsa_user_sgpr_count 6
		.amdhsa_user_sgpr_private_segment_buffer 1
		.amdhsa_user_sgpr_dispatch_ptr 0
		.amdhsa_user_sgpr_queue_ptr 0
		.amdhsa_user_sgpr_kernarg_segment_ptr 1
		.amdhsa_user_sgpr_dispatch_id 0
		.amdhsa_user_sgpr_flat_scratch_init 0
		.amdhsa_user_sgpr_private_segment_size 0
		.amdhsa_uses_dynamic_stack 0
		.amdhsa_system_sgpr_private_segment_wavefront_offset 0
		.amdhsa_system_sgpr_workgroup_id_x 1
		.amdhsa_system_sgpr_workgroup_id_y 0
		.amdhsa_system_sgpr_workgroup_id_z 0
		.amdhsa_system_sgpr_workgroup_info 0
		.amdhsa_system_vgpr_workitem_id 0
		.amdhsa_next_free_vgpr 12
		.amdhsa_next_free_sgpr 28
		.amdhsa_reserve_vcc 1
		.amdhsa_reserve_flat_scratch 0
		.amdhsa_float_round_mode_32 0
		.amdhsa_float_round_mode_16_64 0
		.amdhsa_float_denorm_mode_32 3
		.amdhsa_float_denorm_mode_16_64 3
		.amdhsa_dx10_clamp 1
		.amdhsa_ieee_mode 1
		.amdhsa_fp16_overflow 0
		.amdhsa_exception_fp_ieee_invalid_op 0
		.amdhsa_exception_fp_denorm_src 0
		.amdhsa_exception_fp_ieee_div_zero 0
		.amdhsa_exception_fp_ieee_overflow 0
		.amdhsa_exception_fp_ieee_underflow 0
		.amdhsa_exception_fp_ieee_inexact 0
		.amdhsa_exception_int_div_zero 0
	.end_amdhsa_kernel
	.section	.text._ZL19k_bin_bcast_unravelIXadL_ZL6op_divffEEfffJPKfEEvPKT0_PKT1_PT2_15HIP_vector_typeIjLj3EESB_SB_jSB_SB_SB_SB_SB_SB_iiiiiiiiiiiDpT3_,"axG",@progbits,_ZL19k_bin_bcast_unravelIXadL_ZL6op_divffEEfffJPKfEEvPKT0_PKT1_PT2_15HIP_vector_typeIjLj3EESB_SB_jSB_SB_SB_SB_SB_SB_iiiiiiiiiiiDpT3_,comdat
.Lfunc_end32:
	.size	_ZL19k_bin_bcast_unravelIXadL_ZL6op_divffEEfffJPKfEEvPKT0_PKT1_PT2_15HIP_vector_typeIjLj3EESB_SB_jSB_SB_SB_SB_SB_SB_iiiiiiiiiiiDpT3_, .Lfunc_end32-_ZL19k_bin_bcast_unravelIXadL_ZL6op_divffEEfffJPKfEEvPKT0_PKT1_PT2_15HIP_vector_typeIjLj3EESB_SB_jSB_SB_SB_SB_SB_SB_iiiiiiiiiiiDpT3_
                                        ; -- End function
	.set _ZL19k_bin_bcast_unravelIXadL_ZL6op_divffEEfffJPKfEEvPKT0_PKT1_PT2_15HIP_vector_typeIjLj3EESB_SB_jSB_SB_SB_SB_SB_SB_iiiiiiiiiiiDpT3_.num_vgpr, 12
	.set _ZL19k_bin_bcast_unravelIXadL_ZL6op_divffEEfffJPKfEEvPKT0_PKT1_PT2_15HIP_vector_typeIjLj3EESB_SB_jSB_SB_SB_SB_SB_SB_iiiiiiiiiiiDpT3_.num_agpr, 0
	.set _ZL19k_bin_bcast_unravelIXadL_ZL6op_divffEEfffJPKfEEvPKT0_PKT1_PT2_15HIP_vector_typeIjLj3EESB_SB_jSB_SB_SB_SB_SB_SB_iiiiiiiiiiiDpT3_.numbered_sgpr, 28
	.set _ZL19k_bin_bcast_unravelIXadL_ZL6op_divffEEfffJPKfEEvPKT0_PKT1_PT2_15HIP_vector_typeIjLj3EESB_SB_jSB_SB_SB_SB_SB_SB_iiiiiiiiiiiDpT3_.num_named_barrier, 0
	.set _ZL19k_bin_bcast_unravelIXadL_ZL6op_divffEEfffJPKfEEvPKT0_PKT1_PT2_15HIP_vector_typeIjLj3EESB_SB_jSB_SB_SB_SB_SB_SB_iiiiiiiiiiiDpT3_.private_seg_size, 0
	.set _ZL19k_bin_bcast_unravelIXadL_ZL6op_divffEEfffJPKfEEvPKT0_PKT1_PT2_15HIP_vector_typeIjLj3EESB_SB_jSB_SB_SB_SB_SB_SB_iiiiiiiiiiiDpT3_.uses_vcc, 1
	.set _ZL19k_bin_bcast_unravelIXadL_ZL6op_divffEEfffJPKfEEvPKT0_PKT1_PT2_15HIP_vector_typeIjLj3EESB_SB_jSB_SB_SB_SB_SB_SB_iiiiiiiiiiiDpT3_.uses_flat_scratch, 0
	.set _ZL19k_bin_bcast_unravelIXadL_ZL6op_divffEEfffJPKfEEvPKT0_PKT1_PT2_15HIP_vector_typeIjLj3EESB_SB_jSB_SB_SB_SB_SB_SB_iiiiiiiiiiiDpT3_.has_dyn_sized_stack, 0
	.set _ZL19k_bin_bcast_unravelIXadL_ZL6op_divffEEfffJPKfEEvPKT0_PKT1_PT2_15HIP_vector_typeIjLj3EESB_SB_jSB_SB_SB_SB_SB_SB_iiiiiiiiiiiDpT3_.has_recursion, 0
	.set _ZL19k_bin_bcast_unravelIXadL_ZL6op_divffEEfffJPKfEEvPKT0_PKT1_PT2_15HIP_vector_typeIjLj3EESB_SB_jSB_SB_SB_SB_SB_SB_iiiiiiiiiiiDpT3_.has_indirect_call, 0
	.section	.AMDGPU.csdata,"",@progbits
; Kernel info:
; codeLenInByte = 724
; TotalNumSgprs: 32
; NumVgprs: 12
; ScratchSize: 0
; MemoryBound: 0
; FloatMode: 240
; IeeeMode: 1
; LDSByteSize: 0 bytes/workgroup (compile time only)
; SGPRBlocks: 3
; VGPRBlocks: 2
; NumSGPRsForWavesPerEU: 32
; NumVGPRsForWavesPerEU: 12
; Occupancy: 10
; WaveLimiterHint : 1
; COMPUTE_PGM_RSRC2:SCRATCH_EN: 0
; COMPUTE_PGM_RSRC2:USER_SGPR: 6
; COMPUTE_PGM_RSRC2:TRAP_HANDLER: 0
; COMPUTE_PGM_RSRC2:TGID_X_EN: 1
; COMPUTE_PGM_RSRC2:TGID_Y_EN: 0
; COMPUTE_PGM_RSRC2:TGID_Z_EN: 0
; COMPUTE_PGM_RSRC2:TIDIG_COMP_CNT: 0
	.section	.text._ZL11k_bin_bcastIXadL_ZL6op_divffEEfffJPKfEEvPKT0_PKT1_PT2_iii15HIP_vector_typeIjLj3EESB_SB_SB_SB_iiiiiiiiiiiDpT3_,"axG",@progbits,_ZL11k_bin_bcastIXadL_ZL6op_divffEEfffJPKfEEvPKT0_PKT1_PT2_iii15HIP_vector_typeIjLj3EESB_SB_SB_SB_iiiiiiiiiiiDpT3_,comdat
	.globl	_ZL11k_bin_bcastIXadL_ZL6op_divffEEfffJPKfEEvPKT0_PKT1_PT2_iii15HIP_vector_typeIjLj3EESB_SB_SB_SB_iiiiiiiiiiiDpT3_ ; -- Begin function _ZL11k_bin_bcastIXadL_ZL6op_divffEEfffJPKfEEvPKT0_PKT1_PT2_iii15HIP_vector_typeIjLj3EESB_SB_SB_SB_iiiiiiiiiiiDpT3_
	.p2align	8
	.type	_ZL11k_bin_bcastIXadL_ZL6op_divffEEfffJPKfEEvPKT0_PKT1_PT2_iii15HIP_vector_typeIjLj3EESB_SB_SB_SB_iiiiiiiiiiiDpT3_,@function
_ZL11k_bin_bcastIXadL_ZL6op_divffEEfffJPKfEEvPKT0_PKT1_PT2_iii15HIP_vector_typeIjLj3EESB_SB_SB_SB_iiiiiiiiiiiDpT3_: ; @_ZL11k_bin_bcastIXadL_ZL6op_divffEEfffJPKfEEvPKT0_PKT1_PT2_iii15HIP_vector_typeIjLj3EESB_SB_SB_SB_iiiiiiiiiiiDpT3_
; %bb.0:
	s_load_dwordx2 s[0:1], s[4:5], 0xa4
	s_load_dwordx8 s[12:19], s[4:5], 0x18
	s_add_u32 s2, s4, 0x98
	s_addc_u32 s3, s5, 0
	s_waitcnt lgkmcnt(0)
	s_and_b32 s1, s1, 0xffff
	s_mul_i32 s8, s8, s1
	v_add_u32_e32 v2, s8, v2
	v_mul_hi_u32 v3, v2, s15
	s_lshr_b32 s1, s0, 16
	s_and_b32 s8, s0, 0xffff
	s_mul_i32 s6, s6, s8
	v_add_u32_e32 v3, v2, v3
	v_lshrrev_b32_e32 v7, s16, v3
	v_mul_lo_u32 v4, v7, s17
	s_mul_i32 s7, s7, s1
	v_add_u32_e32 v0, s6, v0
	v_add_u32_e32 v3, s7, v1
	v_cmp_gt_u32_e32 vcc, s12, v0
	v_cmp_gt_u32_e64 s[0:1], s13, v3
	v_sub_u32_e32 v4, v2, v4
	s_and_b64 s[0:1], vcc, s[0:1]
	v_cmp_gt_u32_e32 vcc, s14, v7
	s_and_b64 s[0:1], s[0:1], vcc
	v_cmp_gt_u32_e32 vcc, s17, v4
	s_and_b64 s[0:1], s[0:1], vcc
	s_and_saveexec_b64 s[6:7], s[0:1]
	s_cbranch_execz .LBB33_6
; %bb.1:
	v_cmp_gt_i32_e32 vcc, s12, v0
	s_and_b64 exec, exec, vcc
	s_cbranch_execz .LBB33_6
; %bb.2:
	s_load_dwordx8 s[20:27], s[4:5], 0x60
	s_load_dword s9, s[2:3], 0x0
	s_load_dwordx2 s[6:7], s[4:5], 0x0
	s_load_dwordx8 s[36:43], s[4:5], 0x3c
	s_load_dword s13, s[4:5], 0x38
	s_load_dwordx2 s[10:11], s[4:5], 0x10
	s_nop 0
	s_load_dwordx4 s[0:3], s[4:5], 0x80
	s_load_dwordx2 s[14:15], s[4:5], 0x90
	s_waitcnt lgkmcnt(0)
	v_mul_lo_u32 v8, v4, s22
	v_mul_lo_u32 v9, v7, s21
	;; [unrolled: 1-line block ×4, first 2 shown]
	v_mul_hi_u32 v11, s42, v4
	s_load_dword s3, s[4:5], 0x5c
	v_add3_u32 v8, v9, v10, v8
	v_mul_hi_u32 v10, s39, v7
	v_add_u32_e32 v11, v4, v11
	v_mul_lo_u32 v1, v4, s26
	v_mul_lo_u32 v6, v3, s24
	v_add_u32_e32 v10, v7, v10
	v_lshrrev_b32_e32 v10, s40, v10
	v_mul_lo_u32 v10, v10, s41
	v_lshrrev_b32_e32 v11, s43, v11
	s_waitcnt lgkmcnt(0)
	v_mul_lo_u32 v11, v11, s3
	v_mov_b32_e32 v2, 0
	v_sub_u32_e32 v7, v7, v10
	v_mul_hi_u32 v10, s36, v3
	v_add3_u32 v1, v5, v6, v1
	v_lshlrev_b64 v[5:6], 2, v[1:2]
	v_sub_u32_e32 v4, v4, v11
	v_add_u32_e32 v10, v3, v10
	v_lshrrev_b32_e32 v10, s37, v10
	v_mul_lo_u32 v10, v10, s38
	v_mov_b32_e32 v9, v2
	v_mul_lo_u32 v12, v7, s1
	v_mul_lo_u32 v4, v4, s2
	v_sub_u32_e32 v3, v3, v10
	v_mul_lo_u32 v3, v3, s0
	v_mov_b32_e32 v1, s7
	v_add_co_u32_e32 v5, vcc, s6, v5
	v_lshlrev_b64 v[8:9], 2, v[8:9]
	v_addc_co_u32_e32 v6, vcc, v1, v6, vcc
	v_mov_b32_e32 v1, s11
	v_add_co_u32_e32 v7, vcc, s10, v8
	v_addc_co_u32_e32 v8, vcc, v1, v9, vcc
	v_add3_u32 v1, v12, v4, v3
	v_lshlrev_b64 v[3:4], 2, v[1:2]
	s_cmp_lg_u64 s[6:7], 0
	v_add_co_u32_e32 v9, vcc, s14, v3
	v_mul_lo_u32 v3, s23, v0
	s_cselect_b64 s[0:1], -1, 0
	v_mov_b32_e32 v1, s15
	v_addc_co_u32_e32 v10, vcc, v1, v4, vcc
	s_mul_i32 s6, s9, s8
	v_cndmask_b32_e64 v1, 0, 1, s[0:1]
	s_mov_b64 s[4:5], 0
	s_mul_i32 s7, s6, s23
	s_sub_i32 s8, 0, s13
	v_cmp_ne_u32_e64 s[0:1], 1, v1
	s_branch .LBB33_4
.LBB33_3:                               ;   in Loop: Header=BB33_4 Depth=1
	v_mul_hi_u32 v1, s18, v0
	v_add_u32_e32 v3, s7, v3
	v_add_u32_e32 v1, v0, v1
	v_lshrrev_b32_e32 v1, s19, v1
	v_mad_u64_u32 v[11:12], s[2:3], s8, v1, v[0:1]
	v_mul_lo_u32 v1, v11, s27
	v_lshlrev_b64 v[11:12], 2, v[1:2]
	v_add_co_u32_e32 v11, vcc, v9, v11
	v_addc_co_u32_e32 v12, vcc, v10, v12, vcc
	global_load_dword v13, v[11:12], off
	s_waitcnt vmcnt(0)
	v_div_scale_f32 v1, s[2:3], v13, v13, v4
	v_div_scale_f32 v11, vcc, v4, v13, v4
	v_rcp_f32_e32 v12, v1
	v_fma_f32 v14, -v1, v12, 1.0
	v_fmac_f32_e32 v12, v14, v12
	v_mul_f32_e32 v14, v11, v12
	v_fma_f32 v15, -v1, v14, v11
	v_fmac_f32_e32 v14, v15, v12
	v_fma_f32 v1, -v1, v14, v11
	v_div_fmas_f32 v14, v1, v12, v14
	v_ashrrev_i32_e32 v1, 31, v0
	v_lshlrev_b64 v[11:12], 2, v[0:1]
	v_add_u32_e32 v0, s6, v0
	v_cmp_le_i32_e32 vcc, s12, v0
	v_add_co_u32_e64 v11, s[2:3], v7, v11
	v_addc_co_u32_e64 v12, s[2:3], v8, v12, s[2:3]
	s_or_b64 s[4:5], vcc, s[4:5]
	v_div_fixup_f32 v1, v14, v13, v4
	global_store_dword v[11:12], v1, off
	s_andn2_b64 exec, exec, s[4:5]
	s_cbranch_execz .LBB33_6
.LBB33_4:                               ; =>This Inner Loop Header: Depth=1
	s_and_b64 vcc, exec, s[0:1]
	v_mov_b32_e32 v4, 0
	s_cbranch_vccnz .LBB33_3
; %bb.5:                                ;   in Loop: Header=BB33_4 Depth=1
	v_ashrrev_i32_e32 v4, 31, v3
	v_lshlrev_b64 v[11:12], 2, v[3:4]
	v_add_co_u32_e32 v11, vcc, v5, v11
	v_addc_co_u32_e32 v12, vcc, v6, v12, vcc
	global_load_dword v4, v[11:12], off
	s_branch .LBB33_3
.LBB33_6:
	s_endpgm
	.section	.rodata,"a",@progbits
	.p2align	6, 0x0
	.amdhsa_kernel _ZL11k_bin_bcastIXadL_ZL6op_divffEEfffJPKfEEvPKT0_PKT1_PT2_iii15HIP_vector_typeIjLj3EESB_SB_SB_SB_iiiiiiiiiiiDpT3_
		.amdhsa_group_segment_fixed_size 0
		.amdhsa_private_segment_fixed_size 0
		.amdhsa_kernarg_size 408
		.amdhsa_user_sgpr_count 6
		.amdhsa_user_sgpr_private_segment_buffer 1
		.amdhsa_user_sgpr_dispatch_ptr 0
		.amdhsa_user_sgpr_queue_ptr 0
		.amdhsa_user_sgpr_kernarg_segment_ptr 1
		.amdhsa_user_sgpr_dispatch_id 0
		.amdhsa_user_sgpr_flat_scratch_init 0
		.amdhsa_user_sgpr_private_segment_size 0
		.amdhsa_uses_dynamic_stack 0
		.amdhsa_system_sgpr_private_segment_wavefront_offset 0
		.amdhsa_system_sgpr_workgroup_id_x 1
		.amdhsa_system_sgpr_workgroup_id_y 1
		.amdhsa_system_sgpr_workgroup_id_z 1
		.amdhsa_system_sgpr_workgroup_info 0
		.amdhsa_system_vgpr_workitem_id 2
		.amdhsa_next_free_vgpr 16
		.amdhsa_next_free_sgpr 44
		.amdhsa_reserve_vcc 1
		.amdhsa_reserve_flat_scratch 0
		.amdhsa_float_round_mode_32 0
		.amdhsa_float_round_mode_16_64 0
		.amdhsa_float_denorm_mode_32 3
		.amdhsa_float_denorm_mode_16_64 3
		.amdhsa_dx10_clamp 1
		.amdhsa_ieee_mode 1
		.amdhsa_fp16_overflow 0
		.amdhsa_exception_fp_ieee_invalid_op 0
		.amdhsa_exception_fp_denorm_src 0
		.amdhsa_exception_fp_ieee_div_zero 0
		.amdhsa_exception_fp_ieee_overflow 0
		.amdhsa_exception_fp_ieee_underflow 0
		.amdhsa_exception_fp_ieee_inexact 0
		.amdhsa_exception_int_div_zero 0
	.end_amdhsa_kernel
	.section	.text._ZL11k_bin_bcastIXadL_ZL6op_divffEEfffJPKfEEvPKT0_PKT1_PT2_iii15HIP_vector_typeIjLj3EESB_SB_SB_SB_iiiiiiiiiiiDpT3_,"axG",@progbits,_ZL11k_bin_bcastIXadL_ZL6op_divffEEfffJPKfEEvPKT0_PKT1_PT2_iii15HIP_vector_typeIjLj3EESB_SB_SB_SB_iiiiiiiiiiiDpT3_,comdat
.Lfunc_end33:
	.size	_ZL11k_bin_bcastIXadL_ZL6op_divffEEfffJPKfEEvPKT0_PKT1_PT2_iii15HIP_vector_typeIjLj3EESB_SB_SB_SB_iiiiiiiiiiiDpT3_, .Lfunc_end33-_ZL11k_bin_bcastIXadL_ZL6op_divffEEfffJPKfEEvPKT0_PKT1_PT2_iii15HIP_vector_typeIjLj3EESB_SB_SB_SB_iiiiiiiiiiiDpT3_
                                        ; -- End function
	.set _ZL11k_bin_bcastIXadL_ZL6op_divffEEfffJPKfEEvPKT0_PKT1_PT2_iii15HIP_vector_typeIjLj3EESB_SB_SB_SB_iiiiiiiiiiiDpT3_.num_vgpr, 16
	.set _ZL11k_bin_bcastIXadL_ZL6op_divffEEfffJPKfEEvPKT0_PKT1_PT2_iii15HIP_vector_typeIjLj3EESB_SB_SB_SB_iiiiiiiiiiiDpT3_.num_agpr, 0
	.set _ZL11k_bin_bcastIXadL_ZL6op_divffEEfffJPKfEEvPKT0_PKT1_PT2_iii15HIP_vector_typeIjLj3EESB_SB_SB_SB_iiiiiiiiiiiDpT3_.numbered_sgpr, 44
	.set _ZL11k_bin_bcastIXadL_ZL6op_divffEEfffJPKfEEvPKT0_PKT1_PT2_iii15HIP_vector_typeIjLj3EESB_SB_SB_SB_iiiiiiiiiiiDpT3_.num_named_barrier, 0
	.set _ZL11k_bin_bcastIXadL_ZL6op_divffEEfffJPKfEEvPKT0_PKT1_PT2_iii15HIP_vector_typeIjLj3EESB_SB_SB_SB_iiiiiiiiiiiDpT3_.private_seg_size, 0
	.set _ZL11k_bin_bcastIXadL_ZL6op_divffEEfffJPKfEEvPKT0_PKT1_PT2_iii15HIP_vector_typeIjLj3EESB_SB_SB_SB_iiiiiiiiiiiDpT3_.uses_vcc, 1
	.set _ZL11k_bin_bcastIXadL_ZL6op_divffEEfffJPKfEEvPKT0_PKT1_PT2_iii15HIP_vector_typeIjLj3EESB_SB_SB_SB_iiiiiiiiiiiDpT3_.uses_flat_scratch, 0
	.set _ZL11k_bin_bcastIXadL_ZL6op_divffEEfffJPKfEEvPKT0_PKT1_PT2_iii15HIP_vector_typeIjLj3EESB_SB_SB_SB_iiiiiiiiiiiDpT3_.has_dyn_sized_stack, 0
	.set _ZL11k_bin_bcastIXadL_ZL6op_divffEEfffJPKfEEvPKT0_PKT1_PT2_iii15HIP_vector_typeIjLj3EESB_SB_SB_SB_iiiiiiiiiiiDpT3_.has_recursion, 0
	.set _ZL11k_bin_bcastIXadL_ZL6op_divffEEfffJPKfEEvPKT0_PKT1_PT2_iii15HIP_vector_typeIjLj3EESB_SB_SB_SB_iiiiiiiiiiiDpT3_.has_indirect_call, 0
	.section	.AMDGPU.csdata,"",@progbits
; Kernel info:
; codeLenInByte = 780
; TotalNumSgprs: 48
; NumVgprs: 16
; ScratchSize: 0
; MemoryBound: 0
; FloatMode: 240
; IeeeMode: 1
; LDSByteSize: 0 bytes/workgroup (compile time only)
; SGPRBlocks: 5
; VGPRBlocks: 3
; NumSGPRsForWavesPerEU: 48
; NumVGPRsForWavesPerEU: 16
; Occupancy: 10
; WaveLimiterHint : 1
; COMPUTE_PGM_RSRC2:SCRATCH_EN: 0
; COMPUTE_PGM_RSRC2:USER_SGPR: 6
; COMPUTE_PGM_RSRC2:TRAP_HANDLER: 0
; COMPUTE_PGM_RSRC2:TGID_X_EN: 1
; COMPUTE_PGM_RSRC2:TGID_Y_EN: 1
; COMPUTE_PGM_RSRC2:TGID_Z_EN: 1
; COMPUTE_PGM_RSRC2:TIDIG_COMP_CNT: 2
	.section	.text._ZL19k_bin_bcast_unravelIXadL_ZL6op_divffEE6__halfS0_S0_JPKS0_EEvPKT0_PKT1_PT2_15HIP_vector_typeIjLj3EESC_SC_jSC_SC_SC_SC_SC_SC_iiiiiiiiiiiDpT3_,"axG",@progbits,_ZL19k_bin_bcast_unravelIXadL_ZL6op_divffEE6__halfS0_S0_JPKS0_EEvPKT0_PKT1_PT2_15HIP_vector_typeIjLj3EESC_SC_jSC_SC_SC_SC_SC_SC_iiiiiiiiiiiDpT3_,comdat
	.globl	_ZL19k_bin_bcast_unravelIXadL_ZL6op_divffEE6__halfS0_S0_JPKS0_EEvPKT0_PKT1_PT2_15HIP_vector_typeIjLj3EESC_SC_jSC_SC_SC_SC_SC_SC_iiiiiiiiiiiDpT3_ ; -- Begin function _ZL19k_bin_bcast_unravelIXadL_ZL6op_divffEE6__halfS0_S0_JPKS0_EEvPKT0_PKT1_PT2_15HIP_vector_typeIjLj3EESC_SC_jSC_SC_SC_SC_SC_SC_iiiiiiiiiiiDpT3_
	.p2align	8
	.type	_ZL19k_bin_bcast_unravelIXadL_ZL6op_divffEE6__halfS0_S0_JPKS0_EEvPKT0_PKT1_PT2_15HIP_vector_typeIjLj3EESC_SC_jSC_SC_SC_SC_SC_SC_iiiiiiiiiiiDpT3_,@function
_ZL19k_bin_bcast_unravelIXadL_ZL6op_divffEE6__halfS0_S0_JPKS0_EEvPKT0_PKT1_PT2_15HIP_vector_typeIjLj3EESC_SC_jSC_SC_SC_SC_SC_SC_iiiiiiiiiiiDpT3_: ; @_ZL19k_bin_bcast_unravelIXadL_ZL6op_divffEE6__halfS0_S0_JPKS0_EEvPKT0_PKT1_PT2_15HIP_vector_typeIjLj3EESC_SC_jSC_SC_SC_SC_SC_SC_iiiiiiiiiiiDpT3_
; %bb.0:
	s_load_dword s0, s[4:5], 0xcc
	s_load_dwordx8 s[8:15], s[4:5], 0x38
	s_waitcnt lgkmcnt(0)
	s_and_b32 s0, s0, 0xffff
	s_mul_i32 s6, s6, s0
	v_add_u32_e32 v0, s6, v0
	v_mul_hi_u32 v1, v0, s10
	s_load_dwordx4 s[0:3], s[4:5], 0x18
	s_waitcnt lgkmcnt(0)
	s_load_dword s3, s[4:5], 0x2c
	v_add_u32_e32 v1, v0, v1
	v_lshrrev_b32_e32 v1, s11, v1
	v_mul_lo_u32 v2, v1, s12
	v_sub_u32_e32 v0, v0, v2
	v_mul_hi_u32 v2, v0, s13
	v_add_u32_e32 v2, v0, v2
	v_lshrrev_b32_e32 v3, s14, v2
	v_mul_lo_u32 v2, v3, s15
	v_cmp_gt_u32_e32 vcc, s8, v3
	v_sub_u32_e32 v0, v0, v2
	v_mul_hi_u32 v2, v0, s0
	v_add_u32_e32 v2, v0, v2
	v_lshrrev_b32_e32 v4, s1, v2
	v_mul_lo_u32 v2, v4, s2
	s_waitcnt lgkmcnt(0)
	v_cmp_gt_u32_e64 s[0:1], s3, v4
	v_sub_u32_e32 v0, v0, v2
	v_cmp_gt_u32_e64 s[2:3], s2, v0
	s_and_b64 s[0:1], s[2:3], s[0:1]
	s_and_b64 s[0:1], s[0:1], vcc
	v_cmp_gt_u32_e32 vcc, s9, v1
	s_and_b64 s[0:1], vcc, s[0:1]
	s_and_saveexec_b64 s[2:3], s[0:1]
	s_cbranch_execz .LBB34_4
; %bb.1:
	s_load_dwordx2 s[6:7], s[4:5], 0x0
	s_load_dwordx4 s[0:3], s[4:5], 0xa8
	s_load_dwordx8 s[8:15], s[4:5], 0x88
	s_load_dwordx4 s[24:27], s[4:5], 0x78
	s_load_dwordx8 s[16:23], s[4:5], 0x58
	v_mov_b32_e32 v2, 0
	s_waitcnt lgkmcnt(0)
	s_cmp_eq_u64 s[6:7], 0
	v_mov_b32_e32 v5, 0
	s_cbranch_scc1 .LBB34_3
; %bb.2:
	v_mul_lo_u32 v5, v1, s14
	v_mul_lo_u32 v7, v3, s13
	;; [unrolled: 1-line block ×3, first 2 shown]
	v_mov_b32_e32 v6, 0
	v_mov_b32_e32 v9, s7
	v_add3_u32 v5, v7, v5, v8
	v_lshlrev_b64 v[7:8], 1, v[5:6]
	v_mul_lo_u32 v5, v0, s11
	v_add_co_u32_e32 v7, vcc, s6, v7
	v_addc_co_u32_e32 v8, vcc, v9, v8, vcc
	v_lshlrev_b64 v[5:6], 1, v[5:6]
	v_add_co_u32_e32 v5, vcc, v7, v5
	v_addc_co_u32_e32 v6, vcc, v8, v6, vcc
	global_load_ushort v5, v[5:6], off
	s_waitcnt vmcnt(0)
	v_cvt_f32_f16_e32 v5, v5
.LBB34_3:
	v_mul_hi_u32 v6, s19, v4
	v_mul_hi_u32 v7, s22, v3
	;; [unrolled: 1-line block ×4, first 2 shown]
	v_add_u32_e32 v6, v4, v6
	v_add_u32_e32 v7, v3, v7
	;; [unrolled: 1-line block ×3, first 2 shown]
	v_lshrrev_b32_e32 v6, s20, v6
	v_lshrrev_b32_e32 v7, s23, v7
	;; [unrolled: 1-line block ×3, first 2 shown]
	v_mul_lo_u32 v6, v6, s21
	v_mul_lo_u32 v7, v7, s24
	;; [unrolled: 1-line block ×3, first 2 shown]
	v_add_u32_e32 v9, v0, v9
	v_lshrrev_b32_e32 v9, s17, v9
	v_mul_lo_u32 v9, v9, s18
	v_sub_u32_e32 v6, v4, v6
	v_sub_u32_e32 v7, v3, v7
	;; [unrolled: 1-line block ×3, first 2 shown]
	v_mul_lo_u32 v8, v8, s2
	v_mul_lo_u32 v7, v7, s1
	v_mul_lo_u32 v10, v6, s0
	v_sub_u32_e32 v6, v0, v9
	v_mul_lo_u32 v6, v6, s15
	s_load_dwordx2 s[0:1], s[4:5], 0xb8
	v_add3_u32 v8, v7, v8, v10
	v_ashrrev_i32_e32 v9, 31, v8
	v_lshlrev_b64 v[8:9], 1, v[8:9]
	v_ashrrev_i32_e32 v7, 31, v6
	s_waitcnt lgkmcnt(0)
	v_mov_b32_e32 v10, s1
	v_add_co_u32_e32 v8, vcc, s0, v8
	v_lshlrev_b64 v[6:7], 1, v[6:7]
	v_addc_co_u32_e32 v9, vcc, v10, v9, vcc
	v_add_co_u32_e32 v6, vcc, v8, v6
	v_addc_co_u32_e32 v7, vcc, v9, v7, vcc
	global_load_ushort v6, v[6:7], off
	s_waitcnt vmcnt(0)
	v_cvt_f32_f16_e32 v6, v6
	v_div_scale_f32 v7, s[0:1], v6, v6, v5
	v_div_scale_f32 v8, vcc, v5, v6, v5
	s_load_dwordx2 s[0:1], s[4:5], 0x10
	v_rcp_f32_e32 v9, v7
	v_fma_f32 v10, -v7, v9, 1.0
	v_fmac_f32_e32 v9, v10, v9
	v_mul_f32_e32 v10, v8, v9
	v_fma_f32 v11, -v7, v10, v8
	v_fmac_f32_e32 v10, v11, v9
	v_fma_f32 v7, -v7, v10, v8
	v_div_fmas_f32 v7, v7, v9, v10
	v_mul_lo_u32 v8, v1, s10
	v_mul_lo_u32 v9, v3, s9
	;; [unrolled: 1-line block ×3, first 2 shown]
	v_mov_b32_e32 v1, v2
	v_lshlrev_b64 v[3:4], 1, v[0:1]
	v_add3_u32 v1, v9, v8, v10
	v_lshlrev_b64 v[0:1], 1, v[1:2]
	s_waitcnt lgkmcnt(0)
	v_mov_b32_e32 v2, s1
	v_add_co_u32_e32 v0, vcc, s0, v0
	v_addc_co_u32_e32 v1, vcc, v2, v1, vcc
	v_add_co_u32_e32 v0, vcc, v0, v3
	v_div_fixup_f32 v2, v7, v6, v5
	v_cvt_f16_f32_e32 v2, v2
	v_addc_co_u32_e32 v1, vcc, v1, v4, vcc
	global_store_short v[0:1], v2, off
.LBB34_4:
	s_endpgm
	.section	.rodata,"a",@progbits
	.p2align	6, 0x0
	.amdhsa_kernel _ZL19k_bin_bcast_unravelIXadL_ZL6op_divffEE6__halfS0_S0_JPKS0_EEvPKT0_PKT1_PT2_15HIP_vector_typeIjLj3EESC_SC_jSC_SC_SC_SC_SC_SC_iiiiiiiiiiiDpT3_
		.amdhsa_group_segment_fixed_size 0
		.amdhsa_private_segment_fixed_size 0
		.amdhsa_kernarg_size 448
		.amdhsa_user_sgpr_count 6
		.amdhsa_user_sgpr_private_segment_buffer 1
		.amdhsa_user_sgpr_dispatch_ptr 0
		.amdhsa_user_sgpr_queue_ptr 0
		.amdhsa_user_sgpr_kernarg_segment_ptr 1
		.amdhsa_user_sgpr_dispatch_id 0
		.amdhsa_user_sgpr_flat_scratch_init 0
		.amdhsa_user_sgpr_private_segment_size 0
		.amdhsa_uses_dynamic_stack 0
		.amdhsa_system_sgpr_private_segment_wavefront_offset 0
		.amdhsa_system_sgpr_workgroup_id_x 1
		.amdhsa_system_sgpr_workgroup_id_y 0
		.amdhsa_system_sgpr_workgroup_id_z 0
		.amdhsa_system_sgpr_workgroup_info 0
		.amdhsa_system_vgpr_workitem_id 0
		.amdhsa_next_free_vgpr 12
		.amdhsa_next_free_sgpr 28
		.amdhsa_reserve_vcc 1
		.amdhsa_reserve_flat_scratch 0
		.amdhsa_float_round_mode_32 0
		.amdhsa_float_round_mode_16_64 0
		.amdhsa_float_denorm_mode_32 3
		.amdhsa_float_denorm_mode_16_64 3
		.amdhsa_dx10_clamp 1
		.amdhsa_ieee_mode 1
		.amdhsa_fp16_overflow 0
		.amdhsa_exception_fp_ieee_invalid_op 0
		.amdhsa_exception_fp_denorm_src 0
		.amdhsa_exception_fp_ieee_div_zero 0
		.amdhsa_exception_fp_ieee_overflow 0
		.amdhsa_exception_fp_ieee_underflow 0
		.amdhsa_exception_fp_ieee_inexact 0
		.amdhsa_exception_int_div_zero 0
	.end_amdhsa_kernel
	.section	.text._ZL19k_bin_bcast_unravelIXadL_ZL6op_divffEE6__halfS0_S0_JPKS0_EEvPKT0_PKT1_PT2_15HIP_vector_typeIjLj3EESC_SC_jSC_SC_SC_SC_SC_SC_iiiiiiiiiiiDpT3_,"axG",@progbits,_ZL19k_bin_bcast_unravelIXadL_ZL6op_divffEE6__halfS0_S0_JPKS0_EEvPKT0_PKT1_PT2_15HIP_vector_typeIjLj3EESC_SC_jSC_SC_SC_SC_SC_SC_iiiiiiiiiiiDpT3_,comdat
.Lfunc_end34:
	.size	_ZL19k_bin_bcast_unravelIXadL_ZL6op_divffEE6__halfS0_S0_JPKS0_EEvPKT0_PKT1_PT2_15HIP_vector_typeIjLj3EESC_SC_jSC_SC_SC_SC_SC_SC_iiiiiiiiiiiDpT3_, .Lfunc_end34-_ZL19k_bin_bcast_unravelIXadL_ZL6op_divffEE6__halfS0_S0_JPKS0_EEvPKT0_PKT1_PT2_15HIP_vector_typeIjLj3EESC_SC_jSC_SC_SC_SC_SC_SC_iiiiiiiiiiiDpT3_
                                        ; -- End function
	.set _ZL19k_bin_bcast_unravelIXadL_ZL6op_divffEE6__halfS0_S0_JPKS0_EEvPKT0_PKT1_PT2_15HIP_vector_typeIjLj3EESC_SC_jSC_SC_SC_SC_SC_SC_iiiiiiiiiiiDpT3_.num_vgpr, 12
	.set _ZL19k_bin_bcast_unravelIXadL_ZL6op_divffEE6__halfS0_S0_JPKS0_EEvPKT0_PKT1_PT2_15HIP_vector_typeIjLj3EESC_SC_jSC_SC_SC_SC_SC_SC_iiiiiiiiiiiDpT3_.num_agpr, 0
	.set _ZL19k_bin_bcast_unravelIXadL_ZL6op_divffEE6__halfS0_S0_JPKS0_EEvPKT0_PKT1_PT2_15HIP_vector_typeIjLj3EESC_SC_jSC_SC_SC_SC_SC_SC_iiiiiiiiiiiDpT3_.numbered_sgpr, 28
	.set _ZL19k_bin_bcast_unravelIXadL_ZL6op_divffEE6__halfS0_S0_JPKS0_EEvPKT0_PKT1_PT2_15HIP_vector_typeIjLj3EESC_SC_jSC_SC_SC_SC_SC_SC_iiiiiiiiiiiDpT3_.num_named_barrier, 0
	.set _ZL19k_bin_bcast_unravelIXadL_ZL6op_divffEE6__halfS0_S0_JPKS0_EEvPKT0_PKT1_PT2_15HIP_vector_typeIjLj3EESC_SC_jSC_SC_SC_SC_SC_SC_iiiiiiiiiiiDpT3_.private_seg_size, 0
	.set _ZL19k_bin_bcast_unravelIXadL_ZL6op_divffEE6__halfS0_S0_JPKS0_EEvPKT0_PKT1_PT2_15HIP_vector_typeIjLj3EESC_SC_jSC_SC_SC_SC_SC_SC_iiiiiiiiiiiDpT3_.uses_vcc, 1
	.set _ZL19k_bin_bcast_unravelIXadL_ZL6op_divffEE6__halfS0_S0_JPKS0_EEvPKT0_PKT1_PT2_15HIP_vector_typeIjLj3EESC_SC_jSC_SC_SC_SC_SC_SC_iiiiiiiiiiiDpT3_.uses_flat_scratch, 0
	.set _ZL19k_bin_bcast_unravelIXadL_ZL6op_divffEE6__halfS0_S0_JPKS0_EEvPKT0_PKT1_PT2_15HIP_vector_typeIjLj3EESC_SC_jSC_SC_SC_SC_SC_SC_iiiiiiiiiiiDpT3_.has_dyn_sized_stack, 0
	.set _ZL19k_bin_bcast_unravelIXadL_ZL6op_divffEE6__halfS0_S0_JPKS0_EEvPKT0_PKT1_PT2_15HIP_vector_typeIjLj3EESC_SC_jSC_SC_SC_SC_SC_SC_iiiiiiiiiiiDpT3_.has_recursion, 0
	.set _ZL19k_bin_bcast_unravelIXadL_ZL6op_divffEE6__halfS0_S0_JPKS0_EEvPKT0_PKT1_PT2_15HIP_vector_typeIjLj3EESC_SC_jSC_SC_SC_SC_SC_SC_iiiiiiiiiiiDpT3_.has_indirect_call, 0
	.section	.AMDGPU.csdata,"",@progbits
; Kernel info:
; codeLenInByte = 740
; TotalNumSgprs: 32
; NumVgprs: 12
; ScratchSize: 0
; MemoryBound: 0
; FloatMode: 240
; IeeeMode: 1
; LDSByteSize: 0 bytes/workgroup (compile time only)
; SGPRBlocks: 3
; VGPRBlocks: 2
; NumSGPRsForWavesPerEU: 32
; NumVGPRsForWavesPerEU: 12
; Occupancy: 10
; WaveLimiterHint : 1
; COMPUTE_PGM_RSRC2:SCRATCH_EN: 0
; COMPUTE_PGM_RSRC2:USER_SGPR: 6
; COMPUTE_PGM_RSRC2:TRAP_HANDLER: 0
; COMPUTE_PGM_RSRC2:TGID_X_EN: 1
; COMPUTE_PGM_RSRC2:TGID_Y_EN: 0
; COMPUTE_PGM_RSRC2:TGID_Z_EN: 0
; COMPUTE_PGM_RSRC2:TIDIG_COMP_CNT: 0
	.section	.text._ZL11k_bin_bcastIXadL_ZL6op_divffEE6__halfS0_S0_JPKS0_EEvPKT0_PKT1_PT2_iii15HIP_vector_typeIjLj3EESC_SC_SC_SC_iiiiiiiiiiiDpT3_,"axG",@progbits,_ZL11k_bin_bcastIXadL_ZL6op_divffEE6__halfS0_S0_JPKS0_EEvPKT0_PKT1_PT2_iii15HIP_vector_typeIjLj3EESC_SC_SC_SC_iiiiiiiiiiiDpT3_,comdat
	.globl	_ZL11k_bin_bcastIXadL_ZL6op_divffEE6__halfS0_S0_JPKS0_EEvPKT0_PKT1_PT2_iii15HIP_vector_typeIjLj3EESC_SC_SC_SC_iiiiiiiiiiiDpT3_ ; -- Begin function _ZL11k_bin_bcastIXadL_ZL6op_divffEE6__halfS0_S0_JPKS0_EEvPKT0_PKT1_PT2_iii15HIP_vector_typeIjLj3EESC_SC_SC_SC_iiiiiiiiiiiDpT3_
	.p2align	8
	.type	_ZL11k_bin_bcastIXadL_ZL6op_divffEE6__halfS0_S0_JPKS0_EEvPKT0_PKT1_PT2_iii15HIP_vector_typeIjLj3EESC_SC_SC_SC_iiiiiiiiiiiDpT3_,@function
_ZL11k_bin_bcastIXadL_ZL6op_divffEE6__halfS0_S0_JPKS0_EEvPKT0_PKT1_PT2_iii15HIP_vector_typeIjLj3EESC_SC_SC_SC_iiiiiiiiiiiDpT3_: ; @_ZL11k_bin_bcastIXadL_ZL6op_divffEE6__halfS0_S0_JPKS0_EEvPKT0_PKT1_PT2_iii15HIP_vector_typeIjLj3EESC_SC_SC_SC_iiiiiiiiiiiDpT3_
; %bb.0:
	s_load_dwordx2 s[0:1], s[4:5], 0xa4
	s_load_dwordx8 s[12:19], s[4:5], 0x18
	s_add_u32 s2, s4, 0x98
	s_addc_u32 s3, s5, 0
	s_waitcnt lgkmcnt(0)
	s_and_b32 s1, s1, 0xffff
	s_mul_i32 s8, s8, s1
	v_add_u32_e32 v2, s8, v2
	v_mul_hi_u32 v3, v2, s15
	s_lshr_b32 s1, s0, 16
	s_and_b32 s8, s0, 0xffff
	s_mul_i32 s6, s6, s8
	v_add_u32_e32 v3, v2, v3
	v_lshrrev_b32_e32 v7, s16, v3
	v_mul_lo_u32 v4, v7, s17
	s_mul_i32 s7, s7, s1
	v_add_u32_e32 v0, s6, v0
	v_add_u32_e32 v3, s7, v1
	v_cmp_gt_u32_e32 vcc, s12, v0
	v_cmp_gt_u32_e64 s[0:1], s13, v3
	v_sub_u32_e32 v4, v2, v4
	s_and_b64 s[0:1], vcc, s[0:1]
	v_cmp_gt_u32_e32 vcc, s14, v7
	s_and_b64 s[0:1], s[0:1], vcc
	v_cmp_gt_u32_e32 vcc, s17, v4
	s_and_b64 s[0:1], s[0:1], vcc
	s_and_saveexec_b64 s[6:7], s[0:1]
	s_cbranch_execz .LBB35_6
; %bb.1:
	v_cmp_gt_i32_e32 vcc, s12, v0
	s_and_b64 exec, exec, vcc
	s_cbranch_execz .LBB35_6
; %bb.2:
	s_load_dwordx8 s[20:27], s[4:5], 0x60
	s_load_dword s9, s[2:3], 0x0
	s_load_dwordx2 s[6:7], s[4:5], 0x0
	s_load_dwordx8 s[36:43], s[4:5], 0x3c
	s_load_dword s13, s[4:5], 0x38
	s_load_dwordx2 s[10:11], s[4:5], 0x10
	s_nop 0
	s_load_dwordx4 s[0:3], s[4:5], 0x80
	s_load_dwordx2 s[14:15], s[4:5], 0x90
	s_waitcnt lgkmcnt(0)
	v_mul_lo_u32 v8, v4, s22
	v_mul_lo_u32 v9, v7, s21
	;; [unrolled: 1-line block ×4, first 2 shown]
	v_mul_hi_u32 v11, s42, v4
	s_load_dword s3, s[4:5], 0x5c
	v_add3_u32 v8, v9, v10, v8
	v_mul_hi_u32 v10, s39, v7
	v_add_u32_e32 v11, v4, v11
	v_mul_lo_u32 v1, v4, s26
	v_mul_lo_u32 v6, v3, s24
	v_add_u32_e32 v10, v7, v10
	v_lshrrev_b32_e32 v10, s40, v10
	v_mul_lo_u32 v10, v10, s41
	v_lshrrev_b32_e32 v11, s43, v11
	s_waitcnt lgkmcnt(0)
	v_mul_lo_u32 v11, v11, s3
	v_mov_b32_e32 v2, 0
	v_sub_u32_e32 v7, v7, v10
	v_mul_hi_u32 v10, s36, v3
	v_add3_u32 v1, v5, v6, v1
	v_lshlrev_b64 v[5:6], 1, v[1:2]
	v_sub_u32_e32 v4, v4, v11
	v_add_u32_e32 v10, v3, v10
	v_lshrrev_b32_e32 v10, s37, v10
	v_mul_lo_u32 v10, v10, s38
	v_mov_b32_e32 v9, v2
	v_mul_lo_u32 v12, v7, s1
	v_mul_lo_u32 v4, v4, s2
	v_sub_u32_e32 v3, v3, v10
	v_mul_lo_u32 v3, v3, s0
	v_mov_b32_e32 v1, s7
	v_add_co_u32_e32 v5, vcc, s6, v5
	v_lshlrev_b64 v[8:9], 1, v[8:9]
	v_addc_co_u32_e32 v6, vcc, v1, v6, vcc
	v_mov_b32_e32 v1, s11
	v_add_co_u32_e32 v7, vcc, s10, v8
	v_addc_co_u32_e32 v8, vcc, v1, v9, vcc
	v_add3_u32 v1, v12, v4, v3
	v_lshlrev_b64 v[3:4], 1, v[1:2]
	s_cmp_lg_u64 s[6:7], 0
	v_add_co_u32_e32 v9, vcc, s14, v3
	v_mul_lo_u32 v3, s23, v0
	s_cselect_b64 s[0:1], -1, 0
	v_mov_b32_e32 v1, s15
	v_addc_co_u32_e32 v10, vcc, v1, v4, vcc
	s_mul_i32 s6, s9, s8
	v_cndmask_b32_e64 v1, 0, 1, s[0:1]
	s_mov_b64 s[4:5], 0
	s_mul_i32 s7, s6, s23
	s_sub_i32 s8, 0, s13
	v_cmp_ne_u32_e64 s[0:1], 1, v1
	s_branch .LBB35_4
.LBB35_3:                               ;   in Loop: Header=BB35_4 Depth=1
	v_mul_hi_u32 v1, s18, v0
	v_add_u32_e32 v3, s7, v3
	v_add_u32_e32 v1, v0, v1
	v_lshrrev_b32_e32 v1, s19, v1
	v_mad_u64_u32 v[11:12], s[2:3], s8, v1, v[0:1]
	v_mul_lo_u32 v1, v11, s27
	v_lshlrev_b64 v[11:12], 1, v[1:2]
	v_add_co_u32_e32 v11, vcc, v9, v11
	v_addc_co_u32_e32 v12, vcc, v10, v12, vcc
	global_load_ushort v1, v[11:12], off
	s_waitcnt vmcnt(0)
	v_cvt_f32_f16_e32 v13, v1
	v_div_scale_f32 v1, s[2:3], v13, v13, v4
	v_div_scale_f32 v11, vcc, v4, v13, v4
	v_rcp_f32_e32 v12, v1
	v_fma_f32 v14, -v1, v12, 1.0
	v_fmac_f32_e32 v12, v14, v12
	v_mul_f32_e32 v14, v11, v12
	v_fma_f32 v15, -v1, v14, v11
	v_fmac_f32_e32 v14, v15, v12
	v_fma_f32 v1, -v1, v14, v11
	v_div_fmas_f32 v14, v1, v12, v14
	v_ashrrev_i32_e32 v1, 31, v0
	v_lshlrev_b64 v[11:12], 1, v[0:1]
	v_add_u32_e32 v0, s6, v0
	v_cmp_le_i32_e32 vcc, s12, v0
	v_add_co_u32_e64 v11, s[2:3], v7, v11
	v_addc_co_u32_e64 v12, s[2:3], v8, v12, s[2:3]
	s_or_b64 s[4:5], vcc, s[4:5]
	v_div_fixup_f32 v1, v14, v13, v4
	v_cvt_f16_f32_e32 v1, v1
	global_store_short v[11:12], v1, off
	s_andn2_b64 exec, exec, s[4:5]
	s_cbranch_execz .LBB35_6
.LBB35_4:                               ; =>This Inner Loop Header: Depth=1
	s_and_b64 vcc, exec, s[0:1]
	v_mov_b32_e32 v4, 0
	s_cbranch_vccnz .LBB35_3
; %bb.5:                                ;   in Loop: Header=BB35_4 Depth=1
	v_ashrrev_i32_e32 v4, 31, v3
	v_lshlrev_b64 v[11:12], 1, v[3:4]
	v_add_co_u32_e32 v11, vcc, v5, v11
	v_addc_co_u32_e32 v12, vcc, v6, v12, vcc
	global_load_ushort v1, v[11:12], off
	s_waitcnt vmcnt(0)
	v_cvt_f32_f16_e32 v4, v1
	s_branch .LBB35_3
.LBB35_6:
	s_endpgm
	.section	.rodata,"a",@progbits
	.p2align	6, 0x0
	.amdhsa_kernel _ZL11k_bin_bcastIXadL_ZL6op_divffEE6__halfS0_S0_JPKS0_EEvPKT0_PKT1_PT2_iii15HIP_vector_typeIjLj3EESC_SC_SC_SC_iiiiiiiiiiiDpT3_
		.amdhsa_group_segment_fixed_size 0
		.amdhsa_private_segment_fixed_size 0
		.amdhsa_kernarg_size 408
		.amdhsa_user_sgpr_count 6
		.amdhsa_user_sgpr_private_segment_buffer 1
		.amdhsa_user_sgpr_dispatch_ptr 0
		.amdhsa_user_sgpr_queue_ptr 0
		.amdhsa_user_sgpr_kernarg_segment_ptr 1
		.amdhsa_user_sgpr_dispatch_id 0
		.amdhsa_user_sgpr_flat_scratch_init 0
		.amdhsa_user_sgpr_private_segment_size 0
		.amdhsa_uses_dynamic_stack 0
		.amdhsa_system_sgpr_private_segment_wavefront_offset 0
		.amdhsa_system_sgpr_workgroup_id_x 1
		.amdhsa_system_sgpr_workgroup_id_y 1
		.amdhsa_system_sgpr_workgroup_id_z 1
		.amdhsa_system_sgpr_workgroup_info 0
		.amdhsa_system_vgpr_workitem_id 2
		.amdhsa_next_free_vgpr 16
		.amdhsa_next_free_sgpr 44
		.amdhsa_reserve_vcc 1
		.amdhsa_reserve_flat_scratch 0
		.amdhsa_float_round_mode_32 0
		.amdhsa_float_round_mode_16_64 0
		.amdhsa_float_denorm_mode_32 3
		.amdhsa_float_denorm_mode_16_64 3
		.amdhsa_dx10_clamp 1
		.amdhsa_ieee_mode 1
		.amdhsa_fp16_overflow 0
		.amdhsa_exception_fp_ieee_invalid_op 0
		.amdhsa_exception_fp_denorm_src 0
		.amdhsa_exception_fp_ieee_div_zero 0
		.amdhsa_exception_fp_ieee_overflow 0
		.amdhsa_exception_fp_ieee_underflow 0
		.amdhsa_exception_fp_ieee_inexact 0
		.amdhsa_exception_int_div_zero 0
	.end_amdhsa_kernel
	.section	.text._ZL11k_bin_bcastIXadL_ZL6op_divffEE6__halfS0_S0_JPKS0_EEvPKT0_PKT1_PT2_iii15HIP_vector_typeIjLj3EESC_SC_SC_SC_iiiiiiiiiiiDpT3_,"axG",@progbits,_ZL11k_bin_bcastIXadL_ZL6op_divffEE6__halfS0_S0_JPKS0_EEvPKT0_PKT1_PT2_iii15HIP_vector_typeIjLj3EESC_SC_SC_SC_iiiiiiiiiiiDpT3_,comdat
.Lfunc_end35:
	.size	_ZL11k_bin_bcastIXadL_ZL6op_divffEE6__halfS0_S0_JPKS0_EEvPKT0_PKT1_PT2_iii15HIP_vector_typeIjLj3EESC_SC_SC_SC_iiiiiiiiiiiDpT3_, .Lfunc_end35-_ZL11k_bin_bcastIXadL_ZL6op_divffEE6__halfS0_S0_JPKS0_EEvPKT0_PKT1_PT2_iii15HIP_vector_typeIjLj3EESC_SC_SC_SC_iiiiiiiiiiiDpT3_
                                        ; -- End function
	.set _ZL11k_bin_bcastIXadL_ZL6op_divffEE6__halfS0_S0_JPKS0_EEvPKT0_PKT1_PT2_iii15HIP_vector_typeIjLj3EESC_SC_SC_SC_iiiiiiiiiiiDpT3_.num_vgpr, 16
	.set _ZL11k_bin_bcastIXadL_ZL6op_divffEE6__halfS0_S0_JPKS0_EEvPKT0_PKT1_PT2_iii15HIP_vector_typeIjLj3EESC_SC_SC_SC_iiiiiiiiiiiDpT3_.num_agpr, 0
	.set _ZL11k_bin_bcastIXadL_ZL6op_divffEE6__halfS0_S0_JPKS0_EEvPKT0_PKT1_PT2_iii15HIP_vector_typeIjLj3EESC_SC_SC_SC_iiiiiiiiiiiDpT3_.numbered_sgpr, 44
	.set _ZL11k_bin_bcastIXadL_ZL6op_divffEE6__halfS0_S0_JPKS0_EEvPKT0_PKT1_PT2_iii15HIP_vector_typeIjLj3EESC_SC_SC_SC_iiiiiiiiiiiDpT3_.num_named_barrier, 0
	.set _ZL11k_bin_bcastIXadL_ZL6op_divffEE6__halfS0_S0_JPKS0_EEvPKT0_PKT1_PT2_iii15HIP_vector_typeIjLj3EESC_SC_SC_SC_iiiiiiiiiiiDpT3_.private_seg_size, 0
	.set _ZL11k_bin_bcastIXadL_ZL6op_divffEE6__halfS0_S0_JPKS0_EEvPKT0_PKT1_PT2_iii15HIP_vector_typeIjLj3EESC_SC_SC_SC_iiiiiiiiiiiDpT3_.uses_vcc, 1
	.set _ZL11k_bin_bcastIXadL_ZL6op_divffEE6__halfS0_S0_JPKS0_EEvPKT0_PKT1_PT2_iii15HIP_vector_typeIjLj3EESC_SC_SC_SC_iiiiiiiiiiiDpT3_.uses_flat_scratch, 0
	.set _ZL11k_bin_bcastIXadL_ZL6op_divffEE6__halfS0_S0_JPKS0_EEvPKT0_PKT1_PT2_iii15HIP_vector_typeIjLj3EESC_SC_SC_SC_iiiiiiiiiiiDpT3_.has_dyn_sized_stack, 0
	.set _ZL11k_bin_bcastIXadL_ZL6op_divffEE6__halfS0_S0_JPKS0_EEvPKT0_PKT1_PT2_iii15HIP_vector_typeIjLj3EESC_SC_SC_SC_iiiiiiiiiiiDpT3_.has_recursion, 0
	.set _ZL11k_bin_bcastIXadL_ZL6op_divffEE6__halfS0_S0_JPKS0_EEvPKT0_PKT1_PT2_iii15HIP_vector_typeIjLj3EESC_SC_SC_SC_iiiiiiiiiiiDpT3_.has_indirect_call, 0
	.section	.AMDGPU.csdata,"",@progbits
; Kernel info:
; codeLenInByte = 796
; TotalNumSgprs: 48
; NumVgprs: 16
; ScratchSize: 0
; MemoryBound: 0
; FloatMode: 240
; IeeeMode: 1
; LDSByteSize: 0 bytes/workgroup (compile time only)
; SGPRBlocks: 5
; VGPRBlocks: 3
; NumSGPRsForWavesPerEU: 48
; NumVGPRsForWavesPerEU: 16
; Occupancy: 10
; WaveLimiterHint : 1
; COMPUTE_PGM_RSRC2:SCRATCH_EN: 0
; COMPUTE_PGM_RSRC2:USER_SGPR: 6
; COMPUTE_PGM_RSRC2:TRAP_HANDLER: 0
; COMPUTE_PGM_RSRC2:TGID_X_EN: 1
; COMPUTE_PGM_RSRC2:TGID_Y_EN: 1
; COMPUTE_PGM_RSRC2:TGID_Z_EN: 1
; COMPUTE_PGM_RSRC2:TIDIG_COMP_CNT: 2
	.section	.text._ZL19k_bin_bcast_unravelIXadL_ZL6op_divffEE6__halffS0_JPKfEEvPKT0_PKT1_PT2_15HIP_vector_typeIjLj3EESC_SC_jSC_SC_SC_SC_SC_SC_iiiiiiiiiiiDpT3_,"axG",@progbits,_ZL19k_bin_bcast_unravelIXadL_ZL6op_divffEE6__halffS0_JPKfEEvPKT0_PKT1_PT2_15HIP_vector_typeIjLj3EESC_SC_jSC_SC_SC_SC_SC_SC_iiiiiiiiiiiDpT3_,comdat
	.globl	_ZL19k_bin_bcast_unravelIXadL_ZL6op_divffEE6__halffS0_JPKfEEvPKT0_PKT1_PT2_15HIP_vector_typeIjLj3EESC_SC_jSC_SC_SC_SC_SC_SC_iiiiiiiiiiiDpT3_ ; -- Begin function _ZL19k_bin_bcast_unravelIXadL_ZL6op_divffEE6__halffS0_JPKfEEvPKT0_PKT1_PT2_15HIP_vector_typeIjLj3EESC_SC_jSC_SC_SC_SC_SC_SC_iiiiiiiiiiiDpT3_
	.p2align	8
	.type	_ZL19k_bin_bcast_unravelIXadL_ZL6op_divffEE6__halffS0_JPKfEEvPKT0_PKT1_PT2_15HIP_vector_typeIjLj3EESC_SC_jSC_SC_SC_SC_SC_SC_iiiiiiiiiiiDpT3_,@function
_ZL19k_bin_bcast_unravelIXadL_ZL6op_divffEE6__halffS0_JPKfEEvPKT0_PKT1_PT2_15HIP_vector_typeIjLj3EESC_SC_jSC_SC_SC_SC_SC_SC_iiiiiiiiiiiDpT3_: ; @_ZL19k_bin_bcast_unravelIXadL_ZL6op_divffEE6__halffS0_JPKfEEvPKT0_PKT1_PT2_15HIP_vector_typeIjLj3EESC_SC_jSC_SC_SC_SC_SC_SC_iiiiiiiiiiiDpT3_
; %bb.0:
	s_load_dword s0, s[4:5], 0xcc
	s_load_dwordx8 s[8:15], s[4:5], 0x38
	s_waitcnt lgkmcnt(0)
	s_and_b32 s0, s0, 0xffff
	s_mul_i32 s6, s6, s0
	v_add_u32_e32 v0, s6, v0
	v_mul_hi_u32 v1, v0, s10
	s_load_dwordx4 s[0:3], s[4:5], 0x18
	s_waitcnt lgkmcnt(0)
	s_load_dword s3, s[4:5], 0x2c
	v_add_u32_e32 v1, v0, v1
	v_lshrrev_b32_e32 v1, s11, v1
	v_mul_lo_u32 v2, v1, s12
	v_sub_u32_e32 v0, v0, v2
	v_mul_hi_u32 v2, v0, s13
	v_add_u32_e32 v2, v0, v2
	v_lshrrev_b32_e32 v3, s14, v2
	v_mul_lo_u32 v2, v3, s15
	v_cmp_gt_u32_e32 vcc, s8, v3
	v_sub_u32_e32 v0, v0, v2
	v_mul_hi_u32 v2, v0, s0
	v_add_u32_e32 v2, v0, v2
	v_lshrrev_b32_e32 v4, s1, v2
	v_mul_lo_u32 v2, v4, s2
	s_waitcnt lgkmcnt(0)
	v_cmp_gt_u32_e64 s[0:1], s3, v4
	v_sub_u32_e32 v0, v0, v2
	v_cmp_gt_u32_e64 s[2:3], s2, v0
	s_and_b64 s[0:1], s[2:3], s[0:1]
	s_and_b64 s[0:1], s[0:1], vcc
	v_cmp_gt_u32_e32 vcc, s9, v1
	s_and_b64 s[0:1], vcc, s[0:1]
	s_and_saveexec_b64 s[2:3], s[0:1]
	s_cbranch_execz .LBB36_4
; %bb.1:
	s_load_dwordx2 s[6:7], s[4:5], 0x0
	s_load_dwordx4 s[0:3], s[4:5], 0xa8
	s_load_dwordx8 s[8:15], s[4:5], 0x88
	s_load_dwordx4 s[24:27], s[4:5], 0x78
	s_load_dwordx8 s[16:23], s[4:5], 0x58
	v_mov_b32_e32 v2, 0
	s_waitcnt lgkmcnt(0)
	s_cmp_eq_u64 s[6:7], 0
	v_mov_b32_e32 v5, 0
	s_cbranch_scc1 .LBB36_3
; %bb.2:
	v_mul_lo_u32 v5, v1, s14
	v_mul_lo_u32 v7, v3, s13
	;; [unrolled: 1-line block ×3, first 2 shown]
	v_mov_b32_e32 v6, 0
	v_mov_b32_e32 v9, s7
	v_add3_u32 v5, v7, v5, v8
	v_lshlrev_b64 v[7:8], 1, v[5:6]
	v_mul_lo_u32 v5, v0, s11
	v_add_co_u32_e32 v7, vcc, s6, v7
	v_addc_co_u32_e32 v8, vcc, v9, v8, vcc
	v_lshlrev_b64 v[5:6], 1, v[5:6]
	v_add_co_u32_e32 v5, vcc, v7, v5
	v_addc_co_u32_e32 v6, vcc, v8, v6, vcc
	global_load_ushort v5, v[5:6], off
	s_waitcnt vmcnt(0)
	v_cvt_f32_f16_e32 v5, v5
.LBB36_3:
	v_mul_hi_u32 v6, s19, v4
	v_mul_hi_u32 v7, s22, v3
	;; [unrolled: 1-line block ×4, first 2 shown]
	v_add_u32_e32 v6, v4, v6
	v_add_u32_e32 v7, v3, v7
	;; [unrolled: 1-line block ×3, first 2 shown]
	v_lshrrev_b32_e32 v6, s20, v6
	v_lshrrev_b32_e32 v7, s23, v7
	;; [unrolled: 1-line block ×3, first 2 shown]
	v_mul_lo_u32 v6, v6, s21
	v_mul_lo_u32 v7, v7, s24
	;; [unrolled: 1-line block ×3, first 2 shown]
	v_add_u32_e32 v9, v0, v9
	v_lshrrev_b32_e32 v9, s17, v9
	v_mul_lo_u32 v9, v9, s18
	v_sub_u32_e32 v6, v4, v6
	v_sub_u32_e32 v7, v3, v7
	;; [unrolled: 1-line block ×3, first 2 shown]
	v_mul_lo_u32 v8, v8, s2
	v_mul_lo_u32 v7, v7, s1
	;; [unrolled: 1-line block ×3, first 2 shown]
	v_sub_u32_e32 v6, v0, v9
	v_mul_lo_u32 v6, v6, s15
	s_load_dwordx2 s[0:1], s[4:5], 0xb8
	v_add3_u32 v8, v7, v8, v10
	v_ashrrev_i32_e32 v9, 31, v8
	v_lshlrev_b64 v[8:9], 2, v[8:9]
	v_ashrrev_i32_e32 v7, 31, v6
	s_waitcnt lgkmcnt(0)
	v_mov_b32_e32 v10, s1
	v_add_co_u32_e32 v8, vcc, s0, v8
	v_lshlrev_b64 v[6:7], 2, v[6:7]
	v_addc_co_u32_e32 v9, vcc, v10, v9, vcc
	v_add_co_u32_e32 v6, vcc, v8, v6
	v_addc_co_u32_e32 v7, vcc, v9, v7, vcc
	global_load_dword v6, v[6:7], off
	s_waitcnt vmcnt(0)
	v_div_scale_f32 v7, s[0:1], v6, v6, v5
	v_div_scale_f32 v8, vcc, v5, v6, v5
	s_load_dwordx2 s[0:1], s[4:5], 0x10
	v_rcp_f32_e32 v9, v7
	v_fma_f32 v10, -v7, v9, 1.0
	v_fmac_f32_e32 v9, v10, v9
	v_mul_f32_e32 v10, v8, v9
	v_fma_f32 v11, -v7, v10, v8
	v_fmac_f32_e32 v10, v11, v9
	v_fma_f32 v7, -v7, v10, v8
	v_div_fmas_f32 v7, v7, v9, v10
	v_mul_lo_u32 v8, v1, s10
	v_mul_lo_u32 v9, v3, s9
	;; [unrolled: 1-line block ×3, first 2 shown]
	v_mov_b32_e32 v1, v2
	v_lshlrev_b64 v[3:4], 1, v[0:1]
	v_add3_u32 v1, v9, v8, v10
	v_lshlrev_b64 v[0:1], 1, v[1:2]
	s_waitcnt lgkmcnt(0)
	v_mov_b32_e32 v2, s1
	v_add_co_u32_e32 v0, vcc, s0, v0
	v_addc_co_u32_e32 v1, vcc, v2, v1, vcc
	v_add_co_u32_e32 v0, vcc, v0, v3
	v_div_fixup_f32 v2, v7, v6, v5
	v_cvt_f16_f32_e32 v2, v2
	v_addc_co_u32_e32 v1, vcc, v1, v4, vcc
	global_store_short v[0:1], v2, off
.LBB36_4:
	s_endpgm
	.section	.rodata,"a",@progbits
	.p2align	6, 0x0
	.amdhsa_kernel _ZL19k_bin_bcast_unravelIXadL_ZL6op_divffEE6__halffS0_JPKfEEvPKT0_PKT1_PT2_15HIP_vector_typeIjLj3EESC_SC_jSC_SC_SC_SC_SC_SC_iiiiiiiiiiiDpT3_
		.amdhsa_group_segment_fixed_size 0
		.amdhsa_private_segment_fixed_size 0
		.amdhsa_kernarg_size 448
		.amdhsa_user_sgpr_count 6
		.amdhsa_user_sgpr_private_segment_buffer 1
		.amdhsa_user_sgpr_dispatch_ptr 0
		.amdhsa_user_sgpr_queue_ptr 0
		.amdhsa_user_sgpr_kernarg_segment_ptr 1
		.amdhsa_user_sgpr_dispatch_id 0
		.amdhsa_user_sgpr_flat_scratch_init 0
		.amdhsa_user_sgpr_private_segment_size 0
		.amdhsa_uses_dynamic_stack 0
		.amdhsa_system_sgpr_private_segment_wavefront_offset 0
		.amdhsa_system_sgpr_workgroup_id_x 1
		.amdhsa_system_sgpr_workgroup_id_y 0
		.amdhsa_system_sgpr_workgroup_id_z 0
		.amdhsa_system_sgpr_workgroup_info 0
		.amdhsa_system_vgpr_workitem_id 0
		.amdhsa_next_free_vgpr 12
		.amdhsa_next_free_sgpr 28
		.amdhsa_reserve_vcc 1
		.amdhsa_reserve_flat_scratch 0
		.amdhsa_float_round_mode_32 0
		.amdhsa_float_round_mode_16_64 0
		.amdhsa_float_denorm_mode_32 3
		.amdhsa_float_denorm_mode_16_64 3
		.amdhsa_dx10_clamp 1
		.amdhsa_ieee_mode 1
		.amdhsa_fp16_overflow 0
		.amdhsa_exception_fp_ieee_invalid_op 0
		.amdhsa_exception_fp_denorm_src 0
		.amdhsa_exception_fp_ieee_div_zero 0
		.amdhsa_exception_fp_ieee_overflow 0
		.amdhsa_exception_fp_ieee_underflow 0
		.amdhsa_exception_fp_ieee_inexact 0
		.amdhsa_exception_int_div_zero 0
	.end_amdhsa_kernel
	.section	.text._ZL19k_bin_bcast_unravelIXadL_ZL6op_divffEE6__halffS0_JPKfEEvPKT0_PKT1_PT2_15HIP_vector_typeIjLj3EESC_SC_jSC_SC_SC_SC_SC_SC_iiiiiiiiiiiDpT3_,"axG",@progbits,_ZL19k_bin_bcast_unravelIXadL_ZL6op_divffEE6__halffS0_JPKfEEvPKT0_PKT1_PT2_15HIP_vector_typeIjLj3EESC_SC_jSC_SC_SC_SC_SC_SC_iiiiiiiiiiiDpT3_,comdat
.Lfunc_end36:
	.size	_ZL19k_bin_bcast_unravelIXadL_ZL6op_divffEE6__halffS0_JPKfEEvPKT0_PKT1_PT2_15HIP_vector_typeIjLj3EESC_SC_jSC_SC_SC_SC_SC_SC_iiiiiiiiiiiDpT3_, .Lfunc_end36-_ZL19k_bin_bcast_unravelIXadL_ZL6op_divffEE6__halffS0_JPKfEEvPKT0_PKT1_PT2_15HIP_vector_typeIjLj3EESC_SC_jSC_SC_SC_SC_SC_SC_iiiiiiiiiiiDpT3_
                                        ; -- End function
	.set _ZL19k_bin_bcast_unravelIXadL_ZL6op_divffEE6__halffS0_JPKfEEvPKT0_PKT1_PT2_15HIP_vector_typeIjLj3EESC_SC_jSC_SC_SC_SC_SC_SC_iiiiiiiiiiiDpT3_.num_vgpr, 12
	.set _ZL19k_bin_bcast_unravelIXadL_ZL6op_divffEE6__halffS0_JPKfEEvPKT0_PKT1_PT2_15HIP_vector_typeIjLj3EESC_SC_jSC_SC_SC_SC_SC_SC_iiiiiiiiiiiDpT3_.num_agpr, 0
	.set _ZL19k_bin_bcast_unravelIXadL_ZL6op_divffEE6__halffS0_JPKfEEvPKT0_PKT1_PT2_15HIP_vector_typeIjLj3EESC_SC_jSC_SC_SC_SC_SC_SC_iiiiiiiiiiiDpT3_.numbered_sgpr, 28
	.set _ZL19k_bin_bcast_unravelIXadL_ZL6op_divffEE6__halffS0_JPKfEEvPKT0_PKT1_PT2_15HIP_vector_typeIjLj3EESC_SC_jSC_SC_SC_SC_SC_SC_iiiiiiiiiiiDpT3_.num_named_barrier, 0
	.set _ZL19k_bin_bcast_unravelIXadL_ZL6op_divffEE6__halffS0_JPKfEEvPKT0_PKT1_PT2_15HIP_vector_typeIjLj3EESC_SC_jSC_SC_SC_SC_SC_SC_iiiiiiiiiiiDpT3_.private_seg_size, 0
	.set _ZL19k_bin_bcast_unravelIXadL_ZL6op_divffEE6__halffS0_JPKfEEvPKT0_PKT1_PT2_15HIP_vector_typeIjLj3EESC_SC_jSC_SC_SC_SC_SC_SC_iiiiiiiiiiiDpT3_.uses_vcc, 1
	.set _ZL19k_bin_bcast_unravelIXadL_ZL6op_divffEE6__halffS0_JPKfEEvPKT0_PKT1_PT2_15HIP_vector_typeIjLj3EESC_SC_jSC_SC_SC_SC_SC_SC_iiiiiiiiiiiDpT3_.uses_flat_scratch, 0
	.set _ZL19k_bin_bcast_unravelIXadL_ZL6op_divffEE6__halffS0_JPKfEEvPKT0_PKT1_PT2_15HIP_vector_typeIjLj3EESC_SC_jSC_SC_SC_SC_SC_SC_iiiiiiiiiiiDpT3_.has_dyn_sized_stack, 0
	.set _ZL19k_bin_bcast_unravelIXadL_ZL6op_divffEE6__halffS0_JPKfEEvPKT0_PKT1_PT2_15HIP_vector_typeIjLj3EESC_SC_jSC_SC_SC_SC_SC_SC_iiiiiiiiiiiDpT3_.has_recursion, 0
	.set _ZL19k_bin_bcast_unravelIXadL_ZL6op_divffEE6__halffS0_JPKfEEvPKT0_PKT1_PT2_15HIP_vector_typeIjLj3EESC_SC_jSC_SC_SC_SC_SC_SC_iiiiiiiiiiiDpT3_.has_indirect_call, 0
	.section	.AMDGPU.csdata,"",@progbits
; Kernel info:
; codeLenInByte = 736
; TotalNumSgprs: 32
; NumVgprs: 12
; ScratchSize: 0
; MemoryBound: 0
; FloatMode: 240
; IeeeMode: 1
; LDSByteSize: 0 bytes/workgroup (compile time only)
; SGPRBlocks: 3
; VGPRBlocks: 2
; NumSGPRsForWavesPerEU: 32
; NumVGPRsForWavesPerEU: 12
; Occupancy: 10
; WaveLimiterHint : 1
; COMPUTE_PGM_RSRC2:SCRATCH_EN: 0
; COMPUTE_PGM_RSRC2:USER_SGPR: 6
; COMPUTE_PGM_RSRC2:TRAP_HANDLER: 0
; COMPUTE_PGM_RSRC2:TGID_X_EN: 1
; COMPUTE_PGM_RSRC2:TGID_Y_EN: 0
; COMPUTE_PGM_RSRC2:TGID_Z_EN: 0
; COMPUTE_PGM_RSRC2:TIDIG_COMP_CNT: 0
	.section	.text._ZL11k_bin_bcastIXadL_ZL6op_divffEE6__halffS0_JPKfEEvPKT0_PKT1_PT2_iii15HIP_vector_typeIjLj3EESC_SC_SC_SC_iiiiiiiiiiiDpT3_,"axG",@progbits,_ZL11k_bin_bcastIXadL_ZL6op_divffEE6__halffS0_JPKfEEvPKT0_PKT1_PT2_iii15HIP_vector_typeIjLj3EESC_SC_SC_SC_iiiiiiiiiiiDpT3_,comdat
	.globl	_ZL11k_bin_bcastIXadL_ZL6op_divffEE6__halffS0_JPKfEEvPKT0_PKT1_PT2_iii15HIP_vector_typeIjLj3EESC_SC_SC_SC_iiiiiiiiiiiDpT3_ ; -- Begin function _ZL11k_bin_bcastIXadL_ZL6op_divffEE6__halffS0_JPKfEEvPKT0_PKT1_PT2_iii15HIP_vector_typeIjLj3EESC_SC_SC_SC_iiiiiiiiiiiDpT3_
	.p2align	8
	.type	_ZL11k_bin_bcastIXadL_ZL6op_divffEE6__halffS0_JPKfEEvPKT0_PKT1_PT2_iii15HIP_vector_typeIjLj3EESC_SC_SC_SC_iiiiiiiiiiiDpT3_,@function
_ZL11k_bin_bcastIXadL_ZL6op_divffEE6__halffS0_JPKfEEvPKT0_PKT1_PT2_iii15HIP_vector_typeIjLj3EESC_SC_SC_SC_iiiiiiiiiiiDpT3_: ; @_ZL11k_bin_bcastIXadL_ZL6op_divffEE6__halffS0_JPKfEEvPKT0_PKT1_PT2_iii15HIP_vector_typeIjLj3EESC_SC_SC_SC_iiiiiiiiiiiDpT3_
; %bb.0:
	s_load_dwordx2 s[0:1], s[4:5], 0xa4
	s_load_dwordx8 s[12:19], s[4:5], 0x18
	s_add_u32 s2, s4, 0x98
	s_addc_u32 s3, s5, 0
	s_waitcnt lgkmcnt(0)
	s_and_b32 s1, s1, 0xffff
	s_mul_i32 s8, s8, s1
	v_add_u32_e32 v2, s8, v2
	v_mul_hi_u32 v3, v2, s15
	s_lshr_b32 s1, s0, 16
	s_and_b32 s8, s0, 0xffff
	s_mul_i32 s6, s6, s8
	v_add_u32_e32 v3, v2, v3
	v_lshrrev_b32_e32 v7, s16, v3
	v_mul_lo_u32 v4, v7, s17
	s_mul_i32 s7, s7, s1
	v_add_u32_e32 v0, s6, v0
	v_add_u32_e32 v3, s7, v1
	v_cmp_gt_u32_e32 vcc, s12, v0
	v_cmp_gt_u32_e64 s[0:1], s13, v3
	v_sub_u32_e32 v4, v2, v4
	s_and_b64 s[0:1], vcc, s[0:1]
	v_cmp_gt_u32_e32 vcc, s14, v7
	s_and_b64 s[0:1], s[0:1], vcc
	v_cmp_gt_u32_e32 vcc, s17, v4
	s_and_b64 s[0:1], s[0:1], vcc
	s_and_saveexec_b64 s[6:7], s[0:1]
	s_cbranch_execz .LBB37_6
; %bb.1:
	v_cmp_gt_i32_e32 vcc, s12, v0
	s_and_b64 exec, exec, vcc
	s_cbranch_execz .LBB37_6
; %bb.2:
	s_load_dwordx8 s[20:27], s[4:5], 0x60
	s_load_dword s9, s[2:3], 0x0
	s_load_dwordx2 s[6:7], s[4:5], 0x0
	s_load_dwordx8 s[36:43], s[4:5], 0x3c
	s_load_dword s13, s[4:5], 0x38
	s_load_dwordx2 s[10:11], s[4:5], 0x10
	s_nop 0
	s_load_dwordx4 s[0:3], s[4:5], 0x80
	s_load_dwordx2 s[14:15], s[4:5], 0x90
	s_waitcnt lgkmcnt(0)
	v_mul_lo_u32 v8, v4, s22
	v_mul_lo_u32 v9, v7, s21
	;; [unrolled: 1-line block ×4, first 2 shown]
	v_mul_hi_u32 v11, s42, v4
	s_load_dword s3, s[4:5], 0x5c
	v_add3_u32 v8, v9, v10, v8
	v_mul_hi_u32 v10, s39, v7
	v_add_u32_e32 v11, v4, v11
	v_mul_lo_u32 v1, v4, s26
	v_mul_lo_u32 v6, v3, s24
	v_add_u32_e32 v10, v7, v10
	v_lshrrev_b32_e32 v10, s40, v10
	v_mul_lo_u32 v10, v10, s41
	v_lshrrev_b32_e32 v11, s43, v11
	s_waitcnt lgkmcnt(0)
	v_mul_lo_u32 v11, v11, s3
	v_mov_b32_e32 v2, 0
	v_sub_u32_e32 v7, v7, v10
	v_mul_hi_u32 v10, s36, v3
	v_add3_u32 v1, v5, v6, v1
	v_lshlrev_b64 v[5:6], 1, v[1:2]
	v_sub_u32_e32 v4, v4, v11
	v_add_u32_e32 v10, v3, v10
	v_lshrrev_b32_e32 v10, s37, v10
	v_mul_lo_u32 v10, v10, s38
	v_mov_b32_e32 v9, v2
	v_mul_lo_u32 v12, v7, s1
	v_mul_lo_u32 v4, v4, s2
	v_sub_u32_e32 v3, v3, v10
	v_mul_lo_u32 v3, v3, s0
	v_mov_b32_e32 v1, s7
	v_add_co_u32_e32 v5, vcc, s6, v5
	v_lshlrev_b64 v[8:9], 1, v[8:9]
	v_addc_co_u32_e32 v6, vcc, v1, v6, vcc
	v_mov_b32_e32 v1, s11
	v_add_co_u32_e32 v7, vcc, s10, v8
	v_addc_co_u32_e32 v8, vcc, v1, v9, vcc
	v_add3_u32 v1, v12, v4, v3
	v_lshlrev_b64 v[3:4], 2, v[1:2]
	s_cmp_lg_u64 s[6:7], 0
	v_add_co_u32_e32 v9, vcc, s14, v3
	v_mul_lo_u32 v3, s23, v0
	s_cselect_b64 s[0:1], -1, 0
	v_mov_b32_e32 v1, s15
	v_addc_co_u32_e32 v10, vcc, v1, v4, vcc
	s_mul_i32 s6, s9, s8
	v_cndmask_b32_e64 v1, 0, 1, s[0:1]
	s_mov_b64 s[4:5], 0
	s_mul_i32 s7, s6, s23
	s_sub_i32 s8, 0, s13
	v_cmp_ne_u32_e64 s[0:1], 1, v1
	s_branch .LBB37_4
.LBB37_3:                               ;   in Loop: Header=BB37_4 Depth=1
	v_mul_hi_u32 v1, s18, v0
	v_add_u32_e32 v3, s7, v3
	v_add_u32_e32 v1, v0, v1
	v_lshrrev_b32_e32 v1, s19, v1
	v_mad_u64_u32 v[11:12], s[2:3], s8, v1, v[0:1]
	v_mul_lo_u32 v1, v11, s27
	v_lshlrev_b64 v[11:12], 2, v[1:2]
	v_add_co_u32_e32 v11, vcc, v9, v11
	v_addc_co_u32_e32 v12, vcc, v10, v12, vcc
	global_load_dword v13, v[11:12], off
	s_waitcnt vmcnt(0)
	v_div_scale_f32 v1, s[2:3], v13, v13, v4
	v_div_scale_f32 v11, vcc, v4, v13, v4
	v_rcp_f32_e32 v12, v1
	v_fma_f32 v14, -v1, v12, 1.0
	v_fmac_f32_e32 v12, v14, v12
	v_mul_f32_e32 v14, v11, v12
	v_fma_f32 v15, -v1, v14, v11
	v_fmac_f32_e32 v14, v15, v12
	v_fma_f32 v1, -v1, v14, v11
	v_div_fmas_f32 v14, v1, v12, v14
	v_ashrrev_i32_e32 v1, 31, v0
	v_lshlrev_b64 v[11:12], 1, v[0:1]
	v_add_u32_e32 v0, s6, v0
	v_cmp_le_i32_e32 vcc, s12, v0
	v_add_co_u32_e64 v11, s[2:3], v7, v11
	v_addc_co_u32_e64 v12, s[2:3], v8, v12, s[2:3]
	s_or_b64 s[4:5], vcc, s[4:5]
	v_div_fixup_f32 v1, v14, v13, v4
	v_cvt_f16_f32_e32 v1, v1
	global_store_short v[11:12], v1, off
	s_andn2_b64 exec, exec, s[4:5]
	s_cbranch_execz .LBB37_6
.LBB37_4:                               ; =>This Inner Loop Header: Depth=1
	s_and_b64 vcc, exec, s[0:1]
	v_mov_b32_e32 v4, 0
	s_cbranch_vccnz .LBB37_3
; %bb.5:                                ;   in Loop: Header=BB37_4 Depth=1
	v_ashrrev_i32_e32 v4, 31, v3
	v_lshlrev_b64 v[11:12], 1, v[3:4]
	v_add_co_u32_e32 v11, vcc, v5, v11
	v_addc_co_u32_e32 v12, vcc, v6, v12, vcc
	global_load_ushort v1, v[11:12], off
	s_waitcnt vmcnt(0)
	v_cvt_f32_f16_e32 v4, v1
	s_branch .LBB37_3
.LBB37_6:
	s_endpgm
	.section	.rodata,"a",@progbits
	.p2align	6, 0x0
	.amdhsa_kernel _ZL11k_bin_bcastIXadL_ZL6op_divffEE6__halffS0_JPKfEEvPKT0_PKT1_PT2_iii15HIP_vector_typeIjLj3EESC_SC_SC_SC_iiiiiiiiiiiDpT3_
		.amdhsa_group_segment_fixed_size 0
		.amdhsa_private_segment_fixed_size 0
		.amdhsa_kernarg_size 408
		.amdhsa_user_sgpr_count 6
		.amdhsa_user_sgpr_private_segment_buffer 1
		.amdhsa_user_sgpr_dispatch_ptr 0
		.amdhsa_user_sgpr_queue_ptr 0
		.amdhsa_user_sgpr_kernarg_segment_ptr 1
		.amdhsa_user_sgpr_dispatch_id 0
		.amdhsa_user_sgpr_flat_scratch_init 0
		.amdhsa_user_sgpr_private_segment_size 0
		.amdhsa_uses_dynamic_stack 0
		.amdhsa_system_sgpr_private_segment_wavefront_offset 0
		.amdhsa_system_sgpr_workgroup_id_x 1
		.amdhsa_system_sgpr_workgroup_id_y 1
		.amdhsa_system_sgpr_workgroup_id_z 1
		.amdhsa_system_sgpr_workgroup_info 0
		.amdhsa_system_vgpr_workitem_id 2
		.amdhsa_next_free_vgpr 16
		.amdhsa_next_free_sgpr 44
		.amdhsa_reserve_vcc 1
		.amdhsa_reserve_flat_scratch 0
		.amdhsa_float_round_mode_32 0
		.amdhsa_float_round_mode_16_64 0
		.amdhsa_float_denorm_mode_32 3
		.amdhsa_float_denorm_mode_16_64 3
		.amdhsa_dx10_clamp 1
		.amdhsa_ieee_mode 1
		.amdhsa_fp16_overflow 0
		.amdhsa_exception_fp_ieee_invalid_op 0
		.amdhsa_exception_fp_denorm_src 0
		.amdhsa_exception_fp_ieee_div_zero 0
		.amdhsa_exception_fp_ieee_overflow 0
		.amdhsa_exception_fp_ieee_underflow 0
		.amdhsa_exception_fp_ieee_inexact 0
		.amdhsa_exception_int_div_zero 0
	.end_amdhsa_kernel
	.section	.text._ZL11k_bin_bcastIXadL_ZL6op_divffEE6__halffS0_JPKfEEvPKT0_PKT1_PT2_iii15HIP_vector_typeIjLj3EESC_SC_SC_SC_iiiiiiiiiiiDpT3_,"axG",@progbits,_ZL11k_bin_bcastIXadL_ZL6op_divffEE6__halffS0_JPKfEEvPKT0_PKT1_PT2_iii15HIP_vector_typeIjLj3EESC_SC_SC_SC_iiiiiiiiiiiDpT3_,comdat
.Lfunc_end37:
	.size	_ZL11k_bin_bcastIXadL_ZL6op_divffEE6__halffS0_JPKfEEvPKT0_PKT1_PT2_iii15HIP_vector_typeIjLj3EESC_SC_SC_SC_iiiiiiiiiiiDpT3_, .Lfunc_end37-_ZL11k_bin_bcastIXadL_ZL6op_divffEE6__halffS0_JPKfEEvPKT0_PKT1_PT2_iii15HIP_vector_typeIjLj3EESC_SC_SC_SC_iiiiiiiiiiiDpT3_
                                        ; -- End function
	.set _ZL11k_bin_bcastIXadL_ZL6op_divffEE6__halffS0_JPKfEEvPKT0_PKT1_PT2_iii15HIP_vector_typeIjLj3EESC_SC_SC_SC_iiiiiiiiiiiDpT3_.num_vgpr, 16
	.set _ZL11k_bin_bcastIXadL_ZL6op_divffEE6__halffS0_JPKfEEvPKT0_PKT1_PT2_iii15HIP_vector_typeIjLj3EESC_SC_SC_SC_iiiiiiiiiiiDpT3_.num_agpr, 0
	.set _ZL11k_bin_bcastIXadL_ZL6op_divffEE6__halffS0_JPKfEEvPKT0_PKT1_PT2_iii15HIP_vector_typeIjLj3EESC_SC_SC_SC_iiiiiiiiiiiDpT3_.numbered_sgpr, 44
	.set _ZL11k_bin_bcastIXadL_ZL6op_divffEE6__halffS0_JPKfEEvPKT0_PKT1_PT2_iii15HIP_vector_typeIjLj3EESC_SC_SC_SC_iiiiiiiiiiiDpT3_.num_named_barrier, 0
	.set _ZL11k_bin_bcastIXadL_ZL6op_divffEE6__halffS0_JPKfEEvPKT0_PKT1_PT2_iii15HIP_vector_typeIjLj3EESC_SC_SC_SC_iiiiiiiiiiiDpT3_.private_seg_size, 0
	.set _ZL11k_bin_bcastIXadL_ZL6op_divffEE6__halffS0_JPKfEEvPKT0_PKT1_PT2_iii15HIP_vector_typeIjLj3EESC_SC_SC_SC_iiiiiiiiiiiDpT3_.uses_vcc, 1
	.set _ZL11k_bin_bcastIXadL_ZL6op_divffEE6__halffS0_JPKfEEvPKT0_PKT1_PT2_iii15HIP_vector_typeIjLj3EESC_SC_SC_SC_iiiiiiiiiiiDpT3_.uses_flat_scratch, 0
	.set _ZL11k_bin_bcastIXadL_ZL6op_divffEE6__halffS0_JPKfEEvPKT0_PKT1_PT2_iii15HIP_vector_typeIjLj3EESC_SC_SC_SC_iiiiiiiiiiiDpT3_.has_dyn_sized_stack, 0
	.set _ZL11k_bin_bcastIXadL_ZL6op_divffEE6__halffS0_JPKfEEvPKT0_PKT1_PT2_iii15HIP_vector_typeIjLj3EESC_SC_SC_SC_iiiiiiiiiiiDpT3_.has_recursion, 0
	.set _ZL11k_bin_bcastIXadL_ZL6op_divffEE6__halffS0_JPKfEEvPKT0_PKT1_PT2_iii15HIP_vector_typeIjLj3EESC_SC_SC_SC_iiiiiiiiiiiDpT3_.has_indirect_call, 0
	.section	.AMDGPU.csdata,"",@progbits
; Kernel info:
; codeLenInByte = 792
; TotalNumSgprs: 48
; NumVgprs: 16
; ScratchSize: 0
; MemoryBound: 0
; FloatMode: 240
; IeeeMode: 1
; LDSByteSize: 0 bytes/workgroup (compile time only)
; SGPRBlocks: 5
; VGPRBlocks: 3
; NumSGPRsForWavesPerEU: 48
; NumVGPRsForWavesPerEU: 16
; Occupancy: 10
; WaveLimiterHint : 1
; COMPUTE_PGM_RSRC2:SCRATCH_EN: 0
; COMPUTE_PGM_RSRC2:USER_SGPR: 6
; COMPUTE_PGM_RSRC2:TRAP_HANDLER: 0
; COMPUTE_PGM_RSRC2:TGID_X_EN: 1
; COMPUTE_PGM_RSRC2:TGID_Y_EN: 1
; COMPUTE_PGM_RSRC2:TGID_Z_EN: 1
; COMPUTE_PGM_RSRC2:TIDIG_COMP_CNT: 2
	.section	.text._ZL19k_bin_bcast_unravelIXadL_ZL6op_divffEE6__halfffJPKfEEvPKT0_PKT1_PT2_15HIP_vector_typeIjLj3EESC_SC_jSC_SC_SC_SC_SC_SC_iiiiiiiiiiiDpT3_,"axG",@progbits,_ZL19k_bin_bcast_unravelIXadL_ZL6op_divffEE6__halfffJPKfEEvPKT0_PKT1_PT2_15HIP_vector_typeIjLj3EESC_SC_jSC_SC_SC_SC_SC_SC_iiiiiiiiiiiDpT3_,comdat
	.globl	_ZL19k_bin_bcast_unravelIXadL_ZL6op_divffEE6__halfffJPKfEEvPKT0_PKT1_PT2_15HIP_vector_typeIjLj3EESC_SC_jSC_SC_SC_SC_SC_SC_iiiiiiiiiiiDpT3_ ; -- Begin function _ZL19k_bin_bcast_unravelIXadL_ZL6op_divffEE6__halfffJPKfEEvPKT0_PKT1_PT2_15HIP_vector_typeIjLj3EESC_SC_jSC_SC_SC_SC_SC_SC_iiiiiiiiiiiDpT3_
	.p2align	8
	.type	_ZL19k_bin_bcast_unravelIXadL_ZL6op_divffEE6__halfffJPKfEEvPKT0_PKT1_PT2_15HIP_vector_typeIjLj3EESC_SC_jSC_SC_SC_SC_SC_SC_iiiiiiiiiiiDpT3_,@function
_ZL19k_bin_bcast_unravelIXadL_ZL6op_divffEE6__halfffJPKfEEvPKT0_PKT1_PT2_15HIP_vector_typeIjLj3EESC_SC_jSC_SC_SC_SC_SC_SC_iiiiiiiiiiiDpT3_: ; @_ZL19k_bin_bcast_unravelIXadL_ZL6op_divffEE6__halfffJPKfEEvPKT0_PKT1_PT2_15HIP_vector_typeIjLj3EESC_SC_jSC_SC_SC_SC_SC_SC_iiiiiiiiiiiDpT3_
; %bb.0:
	s_load_dword s0, s[4:5], 0xcc
	s_load_dwordx8 s[8:15], s[4:5], 0x38
	s_waitcnt lgkmcnt(0)
	s_and_b32 s0, s0, 0xffff
	s_mul_i32 s6, s6, s0
	v_add_u32_e32 v0, s6, v0
	v_mul_hi_u32 v1, v0, s10
	s_load_dwordx4 s[0:3], s[4:5], 0x18
	s_waitcnt lgkmcnt(0)
	s_load_dword s3, s[4:5], 0x2c
	v_add_u32_e32 v1, v0, v1
	v_lshrrev_b32_e32 v1, s11, v1
	v_mul_lo_u32 v2, v1, s12
	v_sub_u32_e32 v0, v0, v2
	v_mul_hi_u32 v2, v0, s13
	v_add_u32_e32 v2, v0, v2
	v_lshrrev_b32_e32 v3, s14, v2
	v_mul_lo_u32 v2, v3, s15
	v_cmp_gt_u32_e32 vcc, s8, v3
	v_sub_u32_e32 v0, v0, v2
	v_mul_hi_u32 v2, v0, s0
	v_add_u32_e32 v2, v0, v2
	v_lshrrev_b32_e32 v4, s1, v2
	v_mul_lo_u32 v2, v4, s2
	s_waitcnt lgkmcnt(0)
	v_cmp_gt_u32_e64 s[0:1], s3, v4
	v_sub_u32_e32 v0, v0, v2
	v_cmp_gt_u32_e64 s[2:3], s2, v0
	s_and_b64 s[0:1], s[2:3], s[0:1]
	s_and_b64 s[0:1], s[0:1], vcc
	v_cmp_gt_u32_e32 vcc, s9, v1
	s_and_b64 s[0:1], vcc, s[0:1]
	s_and_saveexec_b64 s[2:3], s[0:1]
	s_cbranch_execz .LBB38_4
; %bb.1:
	s_load_dwordx2 s[6:7], s[4:5], 0x0
	s_load_dwordx4 s[0:3], s[4:5], 0xa8
	s_load_dwordx8 s[8:15], s[4:5], 0x88
	s_load_dwordx4 s[24:27], s[4:5], 0x78
	s_load_dwordx8 s[16:23], s[4:5], 0x58
	v_mov_b32_e32 v2, 0
	s_waitcnt lgkmcnt(0)
	s_cmp_eq_u64 s[6:7], 0
	v_mov_b32_e32 v5, 0
	s_cbranch_scc1 .LBB38_3
; %bb.2:
	v_mul_lo_u32 v5, v1, s14
	v_mul_lo_u32 v7, v3, s13
	;; [unrolled: 1-line block ×3, first 2 shown]
	v_mov_b32_e32 v6, 0
	v_mov_b32_e32 v9, s7
	v_add3_u32 v5, v7, v5, v8
	v_lshlrev_b64 v[7:8], 1, v[5:6]
	v_mul_lo_u32 v5, v0, s11
	v_add_co_u32_e32 v7, vcc, s6, v7
	v_addc_co_u32_e32 v8, vcc, v9, v8, vcc
	v_lshlrev_b64 v[5:6], 1, v[5:6]
	v_add_co_u32_e32 v5, vcc, v7, v5
	v_addc_co_u32_e32 v6, vcc, v8, v6, vcc
	global_load_ushort v5, v[5:6], off
	s_waitcnt vmcnt(0)
	v_cvt_f32_f16_e32 v5, v5
.LBB38_3:
	v_mul_hi_u32 v6, s19, v4
	v_mul_hi_u32 v7, s22, v3
	;; [unrolled: 1-line block ×4, first 2 shown]
	v_add_u32_e32 v6, v4, v6
	v_add_u32_e32 v7, v3, v7
	;; [unrolled: 1-line block ×3, first 2 shown]
	v_lshrrev_b32_e32 v6, s20, v6
	v_lshrrev_b32_e32 v7, s23, v7
	v_lshrrev_b32_e32 v8, s26, v8
	v_mul_lo_u32 v6, v6, s21
	v_mul_lo_u32 v7, v7, s24
	v_mul_lo_u32 v8, v8, s27
	v_add_u32_e32 v9, v0, v9
	v_lshrrev_b32_e32 v9, s17, v9
	v_mul_lo_u32 v9, v9, s18
	v_sub_u32_e32 v6, v4, v6
	v_sub_u32_e32 v7, v3, v7
	;; [unrolled: 1-line block ×3, first 2 shown]
	v_mul_lo_u32 v8, v8, s2
	v_mul_lo_u32 v7, v7, s1
	;; [unrolled: 1-line block ×3, first 2 shown]
	v_sub_u32_e32 v6, v0, v9
	v_mul_lo_u32 v6, v6, s15
	s_load_dwordx2 s[0:1], s[4:5], 0xb8
	v_add3_u32 v8, v7, v8, v10
	v_ashrrev_i32_e32 v9, 31, v8
	v_lshlrev_b64 v[8:9], 2, v[8:9]
	v_ashrrev_i32_e32 v7, 31, v6
	s_waitcnt lgkmcnt(0)
	v_mov_b32_e32 v10, s1
	v_add_co_u32_e32 v8, vcc, s0, v8
	v_lshlrev_b64 v[6:7], 2, v[6:7]
	v_addc_co_u32_e32 v9, vcc, v10, v9, vcc
	v_add_co_u32_e32 v6, vcc, v8, v6
	v_addc_co_u32_e32 v7, vcc, v9, v7, vcc
	global_load_dword v6, v[6:7], off
	s_waitcnt vmcnt(0)
	v_div_scale_f32 v7, s[0:1], v6, v6, v5
	v_div_scale_f32 v8, vcc, v5, v6, v5
	s_load_dwordx2 s[0:1], s[4:5], 0x10
	v_rcp_f32_e32 v9, v7
	v_fma_f32 v10, -v7, v9, 1.0
	v_fmac_f32_e32 v9, v10, v9
	v_mul_f32_e32 v10, v8, v9
	v_fma_f32 v11, -v7, v10, v8
	v_fmac_f32_e32 v10, v11, v9
	v_fma_f32 v7, -v7, v10, v8
	v_div_fmas_f32 v7, v7, v9, v10
	v_mul_lo_u32 v8, v1, s10
	v_mul_lo_u32 v9, v3, s9
	;; [unrolled: 1-line block ×3, first 2 shown]
	v_mov_b32_e32 v1, v2
	v_lshlrev_b64 v[3:4], 2, v[0:1]
	v_add3_u32 v1, v9, v8, v10
	v_lshlrev_b64 v[0:1], 2, v[1:2]
	s_waitcnt lgkmcnt(0)
	v_mov_b32_e32 v2, s1
	v_add_co_u32_e32 v0, vcc, s0, v0
	v_addc_co_u32_e32 v1, vcc, v2, v1, vcc
	v_add_co_u32_e32 v0, vcc, v0, v3
	v_div_fixup_f32 v2, v7, v6, v5
	v_addc_co_u32_e32 v1, vcc, v1, v4, vcc
	global_store_dword v[0:1], v2, off
.LBB38_4:
	s_endpgm
	.section	.rodata,"a",@progbits
	.p2align	6, 0x0
	.amdhsa_kernel _ZL19k_bin_bcast_unravelIXadL_ZL6op_divffEE6__halfffJPKfEEvPKT0_PKT1_PT2_15HIP_vector_typeIjLj3EESC_SC_jSC_SC_SC_SC_SC_SC_iiiiiiiiiiiDpT3_
		.amdhsa_group_segment_fixed_size 0
		.amdhsa_private_segment_fixed_size 0
		.amdhsa_kernarg_size 448
		.amdhsa_user_sgpr_count 6
		.amdhsa_user_sgpr_private_segment_buffer 1
		.amdhsa_user_sgpr_dispatch_ptr 0
		.amdhsa_user_sgpr_queue_ptr 0
		.amdhsa_user_sgpr_kernarg_segment_ptr 1
		.amdhsa_user_sgpr_dispatch_id 0
		.amdhsa_user_sgpr_flat_scratch_init 0
		.amdhsa_user_sgpr_private_segment_size 0
		.amdhsa_uses_dynamic_stack 0
		.amdhsa_system_sgpr_private_segment_wavefront_offset 0
		.amdhsa_system_sgpr_workgroup_id_x 1
		.amdhsa_system_sgpr_workgroup_id_y 0
		.amdhsa_system_sgpr_workgroup_id_z 0
		.amdhsa_system_sgpr_workgroup_info 0
		.amdhsa_system_vgpr_workitem_id 0
		.amdhsa_next_free_vgpr 12
		.amdhsa_next_free_sgpr 28
		.amdhsa_reserve_vcc 1
		.amdhsa_reserve_flat_scratch 0
		.amdhsa_float_round_mode_32 0
		.amdhsa_float_round_mode_16_64 0
		.amdhsa_float_denorm_mode_32 3
		.amdhsa_float_denorm_mode_16_64 3
		.amdhsa_dx10_clamp 1
		.amdhsa_ieee_mode 1
		.amdhsa_fp16_overflow 0
		.amdhsa_exception_fp_ieee_invalid_op 0
		.amdhsa_exception_fp_denorm_src 0
		.amdhsa_exception_fp_ieee_div_zero 0
		.amdhsa_exception_fp_ieee_overflow 0
		.amdhsa_exception_fp_ieee_underflow 0
		.amdhsa_exception_fp_ieee_inexact 0
		.amdhsa_exception_int_div_zero 0
	.end_amdhsa_kernel
	.section	.text._ZL19k_bin_bcast_unravelIXadL_ZL6op_divffEE6__halfffJPKfEEvPKT0_PKT1_PT2_15HIP_vector_typeIjLj3EESC_SC_jSC_SC_SC_SC_SC_SC_iiiiiiiiiiiDpT3_,"axG",@progbits,_ZL19k_bin_bcast_unravelIXadL_ZL6op_divffEE6__halfffJPKfEEvPKT0_PKT1_PT2_15HIP_vector_typeIjLj3EESC_SC_jSC_SC_SC_SC_SC_SC_iiiiiiiiiiiDpT3_,comdat
.Lfunc_end38:
	.size	_ZL19k_bin_bcast_unravelIXadL_ZL6op_divffEE6__halfffJPKfEEvPKT0_PKT1_PT2_15HIP_vector_typeIjLj3EESC_SC_jSC_SC_SC_SC_SC_SC_iiiiiiiiiiiDpT3_, .Lfunc_end38-_ZL19k_bin_bcast_unravelIXadL_ZL6op_divffEE6__halfffJPKfEEvPKT0_PKT1_PT2_15HIP_vector_typeIjLj3EESC_SC_jSC_SC_SC_SC_SC_SC_iiiiiiiiiiiDpT3_
                                        ; -- End function
	.set _ZL19k_bin_bcast_unravelIXadL_ZL6op_divffEE6__halfffJPKfEEvPKT0_PKT1_PT2_15HIP_vector_typeIjLj3EESC_SC_jSC_SC_SC_SC_SC_SC_iiiiiiiiiiiDpT3_.num_vgpr, 12
	.set _ZL19k_bin_bcast_unravelIXadL_ZL6op_divffEE6__halfffJPKfEEvPKT0_PKT1_PT2_15HIP_vector_typeIjLj3EESC_SC_jSC_SC_SC_SC_SC_SC_iiiiiiiiiiiDpT3_.num_agpr, 0
	.set _ZL19k_bin_bcast_unravelIXadL_ZL6op_divffEE6__halfffJPKfEEvPKT0_PKT1_PT2_15HIP_vector_typeIjLj3EESC_SC_jSC_SC_SC_SC_SC_SC_iiiiiiiiiiiDpT3_.numbered_sgpr, 28
	.set _ZL19k_bin_bcast_unravelIXadL_ZL6op_divffEE6__halfffJPKfEEvPKT0_PKT1_PT2_15HIP_vector_typeIjLj3EESC_SC_jSC_SC_SC_SC_SC_SC_iiiiiiiiiiiDpT3_.num_named_barrier, 0
	.set _ZL19k_bin_bcast_unravelIXadL_ZL6op_divffEE6__halfffJPKfEEvPKT0_PKT1_PT2_15HIP_vector_typeIjLj3EESC_SC_jSC_SC_SC_SC_SC_SC_iiiiiiiiiiiDpT3_.private_seg_size, 0
	.set _ZL19k_bin_bcast_unravelIXadL_ZL6op_divffEE6__halfffJPKfEEvPKT0_PKT1_PT2_15HIP_vector_typeIjLj3EESC_SC_jSC_SC_SC_SC_SC_SC_iiiiiiiiiiiDpT3_.uses_vcc, 1
	.set _ZL19k_bin_bcast_unravelIXadL_ZL6op_divffEE6__halfffJPKfEEvPKT0_PKT1_PT2_15HIP_vector_typeIjLj3EESC_SC_jSC_SC_SC_SC_SC_SC_iiiiiiiiiiiDpT3_.uses_flat_scratch, 0
	.set _ZL19k_bin_bcast_unravelIXadL_ZL6op_divffEE6__halfffJPKfEEvPKT0_PKT1_PT2_15HIP_vector_typeIjLj3EESC_SC_jSC_SC_SC_SC_SC_SC_iiiiiiiiiiiDpT3_.has_dyn_sized_stack, 0
	.set _ZL19k_bin_bcast_unravelIXadL_ZL6op_divffEE6__halfffJPKfEEvPKT0_PKT1_PT2_15HIP_vector_typeIjLj3EESC_SC_jSC_SC_SC_SC_SC_SC_iiiiiiiiiiiDpT3_.has_recursion, 0
	.set _ZL19k_bin_bcast_unravelIXadL_ZL6op_divffEE6__halfffJPKfEEvPKT0_PKT1_PT2_15HIP_vector_typeIjLj3EESC_SC_jSC_SC_SC_SC_SC_SC_iiiiiiiiiiiDpT3_.has_indirect_call, 0
	.section	.AMDGPU.csdata,"",@progbits
; Kernel info:
; codeLenInByte = 732
; TotalNumSgprs: 32
; NumVgprs: 12
; ScratchSize: 0
; MemoryBound: 0
; FloatMode: 240
; IeeeMode: 1
; LDSByteSize: 0 bytes/workgroup (compile time only)
; SGPRBlocks: 3
; VGPRBlocks: 2
; NumSGPRsForWavesPerEU: 32
; NumVGPRsForWavesPerEU: 12
; Occupancy: 10
; WaveLimiterHint : 1
; COMPUTE_PGM_RSRC2:SCRATCH_EN: 0
; COMPUTE_PGM_RSRC2:USER_SGPR: 6
; COMPUTE_PGM_RSRC2:TRAP_HANDLER: 0
; COMPUTE_PGM_RSRC2:TGID_X_EN: 1
; COMPUTE_PGM_RSRC2:TGID_Y_EN: 0
; COMPUTE_PGM_RSRC2:TGID_Z_EN: 0
; COMPUTE_PGM_RSRC2:TIDIG_COMP_CNT: 0
	.section	.text._ZL11k_bin_bcastIXadL_ZL6op_divffEE6__halfffJPKfEEvPKT0_PKT1_PT2_iii15HIP_vector_typeIjLj3EESC_SC_SC_SC_iiiiiiiiiiiDpT3_,"axG",@progbits,_ZL11k_bin_bcastIXadL_ZL6op_divffEE6__halfffJPKfEEvPKT0_PKT1_PT2_iii15HIP_vector_typeIjLj3EESC_SC_SC_SC_iiiiiiiiiiiDpT3_,comdat
	.globl	_ZL11k_bin_bcastIXadL_ZL6op_divffEE6__halfffJPKfEEvPKT0_PKT1_PT2_iii15HIP_vector_typeIjLj3EESC_SC_SC_SC_iiiiiiiiiiiDpT3_ ; -- Begin function _ZL11k_bin_bcastIXadL_ZL6op_divffEE6__halfffJPKfEEvPKT0_PKT1_PT2_iii15HIP_vector_typeIjLj3EESC_SC_SC_SC_iiiiiiiiiiiDpT3_
	.p2align	8
	.type	_ZL11k_bin_bcastIXadL_ZL6op_divffEE6__halfffJPKfEEvPKT0_PKT1_PT2_iii15HIP_vector_typeIjLj3EESC_SC_SC_SC_iiiiiiiiiiiDpT3_,@function
_ZL11k_bin_bcastIXadL_ZL6op_divffEE6__halfffJPKfEEvPKT0_PKT1_PT2_iii15HIP_vector_typeIjLj3EESC_SC_SC_SC_iiiiiiiiiiiDpT3_: ; @_ZL11k_bin_bcastIXadL_ZL6op_divffEE6__halfffJPKfEEvPKT0_PKT1_PT2_iii15HIP_vector_typeIjLj3EESC_SC_SC_SC_iiiiiiiiiiiDpT3_
; %bb.0:
	s_load_dwordx2 s[0:1], s[4:5], 0xa4
	s_load_dwordx8 s[12:19], s[4:5], 0x18
	s_add_u32 s2, s4, 0x98
	s_addc_u32 s3, s5, 0
	s_waitcnt lgkmcnt(0)
	s_and_b32 s1, s1, 0xffff
	s_mul_i32 s8, s8, s1
	v_add_u32_e32 v2, s8, v2
	v_mul_hi_u32 v3, v2, s15
	s_lshr_b32 s1, s0, 16
	s_and_b32 s8, s0, 0xffff
	s_mul_i32 s6, s6, s8
	v_add_u32_e32 v3, v2, v3
	v_lshrrev_b32_e32 v7, s16, v3
	v_mul_lo_u32 v4, v7, s17
	s_mul_i32 s7, s7, s1
	v_add_u32_e32 v0, s6, v0
	v_add_u32_e32 v3, s7, v1
	v_cmp_gt_u32_e32 vcc, s12, v0
	v_cmp_gt_u32_e64 s[0:1], s13, v3
	v_sub_u32_e32 v4, v2, v4
	s_and_b64 s[0:1], vcc, s[0:1]
	v_cmp_gt_u32_e32 vcc, s14, v7
	s_and_b64 s[0:1], s[0:1], vcc
	v_cmp_gt_u32_e32 vcc, s17, v4
	s_and_b64 s[0:1], s[0:1], vcc
	s_and_saveexec_b64 s[6:7], s[0:1]
	s_cbranch_execz .LBB39_6
; %bb.1:
	v_cmp_gt_i32_e32 vcc, s12, v0
	s_and_b64 exec, exec, vcc
	s_cbranch_execz .LBB39_6
; %bb.2:
	s_load_dwordx8 s[20:27], s[4:5], 0x60
	s_load_dword s9, s[2:3], 0x0
	s_load_dwordx2 s[6:7], s[4:5], 0x0
	s_load_dwordx8 s[36:43], s[4:5], 0x3c
	s_load_dword s13, s[4:5], 0x38
	s_load_dwordx2 s[10:11], s[4:5], 0x10
	s_nop 0
	s_load_dwordx4 s[0:3], s[4:5], 0x80
	s_load_dwordx2 s[14:15], s[4:5], 0x90
	s_waitcnt lgkmcnt(0)
	v_mul_lo_u32 v8, v4, s22
	v_mul_lo_u32 v9, v7, s21
	;; [unrolled: 1-line block ×4, first 2 shown]
	v_mul_hi_u32 v11, s42, v4
	s_load_dword s3, s[4:5], 0x5c
	v_add3_u32 v8, v9, v10, v8
	v_mul_hi_u32 v10, s39, v7
	v_add_u32_e32 v11, v4, v11
	v_mul_lo_u32 v1, v4, s26
	v_mul_lo_u32 v6, v3, s24
	v_add_u32_e32 v10, v7, v10
	v_lshrrev_b32_e32 v10, s40, v10
	v_mul_lo_u32 v10, v10, s41
	v_lshrrev_b32_e32 v11, s43, v11
	s_waitcnt lgkmcnt(0)
	v_mul_lo_u32 v11, v11, s3
	v_mov_b32_e32 v2, 0
	v_sub_u32_e32 v7, v7, v10
	v_mul_hi_u32 v10, s36, v3
	v_add3_u32 v1, v5, v6, v1
	v_lshlrev_b64 v[5:6], 1, v[1:2]
	v_sub_u32_e32 v4, v4, v11
	v_add_u32_e32 v10, v3, v10
	v_lshrrev_b32_e32 v10, s37, v10
	v_mul_lo_u32 v10, v10, s38
	v_mov_b32_e32 v9, v2
	v_mul_lo_u32 v12, v7, s1
	v_mul_lo_u32 v4, v4, s2
	v_sub_u32_e32 v3, v3, v10
	v_mul_lo_u32 v3, v3, s0
	v_mov_b32_e32 v1, s7
	v_add_co_u32_e32 v5, vcc, s6, v5
	v_lshlrev_b64 v[8:9], 2, v[8:9]
	v_addc_co_u32_e32 v6, vcc, v1, v6, vcc
	v_mov_b32_e32 v1, s11
	v_add_co_u32_e32 v7, vcc, s10, v8
	v_addc_co_u32_e32 v8, vcc, v1, v9, vcc
	v_add3_u32 v1, v12, v4, v3
	v_lshlrev_b64 v[3:4], 2, v[1:2]
	s_cmp_lg_u64 s[6:7], 0
	v_add_co_u32_e32 v9, vcc, s14, v3
	v_mul_lo_u32 v3, s23, v0
	s_cselect_b64 s[0:1], -1, 0
	v_mov_b32_e32 v1, s15
	v_addc_co_u32_e32 v10, vcc, v1, v4, vcc
	s_mul_i32 s6, s9, s8
	v_cndmask_b32_e64 v1, 0, 1, s[0:1]
	s_mov_b64 s[4:5], 0
	s_mul_i32 s7, s6, s23
	s_sub_i32 s8, 0, s13
	v_cmp_ne_u32_e64 s[0:1], 1, v1
	s_branch .LBB39_4
.LBB39_3:                               ;   in Loop: Header=BB39_4 Depth=1
	v_mul_hi_u32 v1, s18, v0
	v_add_u32_e32 v3, s7, v3
	v_add_u32_e32 v1, v0, v1
	v_lshrrev_b32_e32 v1, s19, v1
	v_mad_u64_u32 v[11:12], s[2:3], s8, v1, v[0:1]
	v_mul_lo_u32 v1, v11, s27
	v_lshlrev_b64 v[11:12], 2, v[1:2]
	v_add_co_u32_e32 v11, vcc, v9, v11
	v_addc_co_u32_e32 v12, vcc, v10, v12, vcc
	global_load_dword v13, v[11:12], off
	s_waitcnt vmcnt(0)
	v_div_scale_f32 v1, s[2:3], v13, v13, v4
	v_div_scale_f32 v11, vcc, v4, v13, v4
	v_rcp_f32_e32 v12, v1
	v_fma_f32 v14, -v1, v12, 1.0
	v_fmac_f32_e32 v12, v14, v12
	v_mul_f32_e32 v14, v11, v12
	v_fma_f32 v15, -v1, v14, v11
	v_fmac_f32_e32 v14, v15, v12
	v_fma_f32 v1, -v1, v14, v11
	v_div_fmas_f32 v14, v1, v12, v14
	v_ashrrev_i32_e32 v1, 31, v0
	v_lshlrev_b64 v[11:12], 2, v[0:1]
	v_add_u32_e32 v0, s6, v0
	v_cmp_le_i32_e32 vcc, s12, v0
	v_add_co_u32_e64 v11, s[2:3], v7, v11
	v_addc_co_u32_e64 v12, s[2:3], v8, v12, s[2:3]
	s_or_b64 s[4:5], vcc, s[4:5]
	v_div_fixup_f32 v1, v14, v13, v4
	global_store_dword v[11:12], v1, off
	s_andn2_b64 exec, exec, s[4:5]
	s_cbranch_execz .LBB39_6
.LBB39_4:                               ; =>This Inner Loop Header: Depth=1
	s_and_b64 vcc, exec, s[0:1]
	v_mov_b32_e32 v4, 0
	s_cbranch_vccnz .LBB39_3
; %bb.5:                                ;   in Loop: Header=BB39_4 Depth=1
	v_ashrrev_i32_e32 v4, 31, v3
	v_lshlrev_b64 v[11:12], 1, v[3:4]
	v_add_co_u32_e32 v11, vcc, v5, v11
	v_addc_co_u32_e32 v12, vcc, v6, v12, vcc
	global_load_ushort v1, v[11:12], off
	s_waitcnt vmcnt(0)
	v_cvt_f32_f16_e32 v4, v1
	s_branch .LBB39_3
.LBB39_6:
	s_endpgm
	.section	.rodata,"a",@progbits
	.p2align	6, 0x0
	.amdhsa_kernel _ZL11k_bin_bcastIXadL_ZL6op_divffEE6__halfffJPKfEEvPKT0_PKT1_PT2_iii15HIP_vector_typeIjLj3EESC_SC_SC_SC_iiiiiiiiiiiDpT3_
		.amdhsa_group_segment_fixed_size 0
		.amdhsa_private_segment_fixed_size 0
		.amdhsa_kernarg_size 408
		.amdhsa_user_sgpr_count 6
		.amdhsa_user_sgpr_private_segment_buffer 1
		.amdhsa_user_sgpr_dispatch_ptr 0
		.amdhsa_user_sgpr_queue_ptr 0
		.amdhsa_user_sgpr_kernarg_segment_ptr 1
		.amdhsa_user_sgpr_dispatch_id 0
		.amdhsa_user_sgpr_flat_scratch_init 0
		.amdhsa_user_sgpr_private_segment_size 0
		.amdhsa_uses_dynamic_stack 0
		.amdhsa_system_sgpr_private_segment_wavefront_offset 0
		.amdhsa_system_sgpr_workgroup_id_x 1
		.amdhsa_system_sgpr_workgroup_id_y 1
		.amdhsa_system_sgpr_workgroup_id_z 1
		.amdhsa_system_sgpr_workgroup_info 0
		.amdhsa_system_vgpr_workitem_id 2
		.amdhsa_next_free_vgpr 16
		.amdhsa_next_free_sgpr 44
		.amdhsa_reserve_vcc 1
		.amdhsa_reserve_flat_scratch 0
		.amdhsa_float_round_mode_32 0
		.amdhsa_float_round_mode_16_64 0
		.amdhsa_float_denorm_mode_32 3
		.amdhsa_float_denorm_mode_16_64 3
		.amdhsa_dx10_clamp 1
		.amdhsa_ieee_mode 1
		.amdhsa_fp16_overflow 0
		.amdhsa_exception_fp_ieee_invalid_op 0
		.amdhsa_exception_fp_denorm_src 0
		.amdhsa_exception_fp_ieee_div_zero 0
		.amdhsa_exception_fp_ieee_overflow 0
		.amdhsa_exception_fp_ieee_underflow 0
		.amdhsa_exception_fp_ieee_inexact 0
		.amdhsa_exception_int_div_zero 0
	.end_amdhsa_kernel
	.section	.text._ZL11k_bin_bcastIXadL_ZL6op_divffEE6__halfffJPKfEEvPKT0_PKT1_PT2_iii15HIP_vector_typeIjLj3EESC_SC_SC_SC_iiiiiiiiiiiDpT3_,"axG",@progbits,_ZL11k_bin_bcastIXadL_ZL6op_divffEE6__halfffJPKfEEvPKT0_PKT1_PT2_iii15HIP_vector_typeIjLj3EESC_SC_SC_SC_iiiiiiiiiiiDpT3_,comdat
.Lfunc_end39:
	.size	_ZL11k_bin_bcastIXadL_ZL6op_divffEE6__halfffJPKfEEvPKT0_PKT1_PT2_iii15HIP_vector_typeIjLj3EESC_SC_SC_SC_iiiiiiiiiiiDpT3_, .Lfunc_end39-_ZL11k_bin_bcastIXadL_ZL6op_divffEE6__halfffJPKfEEvPKT0_PKT1_PT2_iii15HIP_vector_typeIjLj3EESC_SC_SC_SC_iiiiiiiiiiiDpT3_
                                        ; -- End function
	.set _ZL11k_bin_bcastIXadL_ZL6op_divffEE6__halfffJPKfEEvPKT0_PKT1_PT2_iii15HIP_vector_typeIjLj3EESC_SC_SC_SC_iiiiiiiiiiiDpT3_.num_vgpr, 16
	.set _ZL11k_bin_bcastIXadL_ZL6op_divffEE6__halfffJPKfEEvPKT0_PKT1_PT2_iii15HIP_vector_typeIjLj3EESC_SC_SC_SC_iiiiiiiiiiiDpT3_.num_agpr, 0
	.set _ZL11k_bin_bcastIXadL_ZL6op_divffEE6__halfffJPKfEEvPKT0_PKT1_PT2_iii15HIP_vector_typeIjLj3EESC_SC_SC_SC_iiiiiiiiiiiDpT3_.numbered_sgpr, 44
	.set _ZL11k_bin_bcastIXadL_ZL6op_divffEE6__halfffJPKfEEvPKT0_PKT1_PT2_iii15HIP_vector_typeIjLj3EESC_SC_SC_SC_iiiiiiiiiiiDpT3_.num_named_barrier, 0
	.set _ZL11k_bin_bcastIXadL_ZL6op_divffEE6__halfffJPKfEEvPKT0_PKT1_PT2_iii15HIP_vector_typeIjLj3EESC_SC_SC_SC_iiiiiiiiiiiDpT3_.private_seg_size, 0
	.set _ZL11k_bin_bcastIXadL_ZL6op_divffEE6__halfffJPKfEEvPKT0_PKT1_PT2_iii15HIP_vector_typeIjLj3EESC_SC_SC_SC_iiiiiiiiiiiDpT3_.uses_vcc, 1
	.set _ZL11k_bin_bcastIXadL_ZL6op_divffEE6__halfffJPKfEEvPKT0_PKT1_PT2_iii15HIP_vector_typeIjLj3EESC_SC_SC_SC_iiiiiiiiiiiDpT3_.uses_flat_scratch, 0
	.set _ZL11k_bin_bcastIXadL_ZL6op_divffEE6__halfffJPKfEEvPKT0_PKT1_PT2_iii15HIP_vector_typeIjLj3EESC_SC_SC_SC_iiiiiiiiiiiDpT3_.has_dyn_sized_stack, 0
	.set _ZL11k_bin_bcastIXadL_ZL6op_divffEE6__halfffJPKfEEvPKT0_PKT1_PT2_iii15HIP_vector_typeIjLj3EESC_SC_SC_SC_iiiiiiiiiiiDpT3_.has_recursion, 0
	.set _ZL11k_bin_bcastIXadL_ZL6op_divffEE6__halfffJPKfEEvPKT0_PKT1_PT2_iii15HIP_vector_typeIjLj3EESC_SC_SC_SC_iiiiiiiiiiiDpT3_.has_indirect_call, 0
	.section	.AMDGPU.csdata,"",@progbits
; Kernel info:
; codeLenInByte = 788
; TotalNumSgprs: 48
; NumVgprs: 16
; ScratchSize: 0
; MemoryBound: 0
; FloatMode: 240
; IeeeMode: 1
; LDSByteSize: 0 bytes/workgroup (compile time only)
; SGPRBlocks: 5
; VGPRBlocks: 3
; NumSGPRsForWavesPerEU: 48
; NumVGPRsForWavesPerEU: 16
; Occupancy: 10
; WaveLimiterHint : 1
; COMPUTE_PGM_RSRC2:SCRATCH_EN: 0
; COMPUTE_PGM_RSRC2:USER_SGPR: 6
; COMPUTE_PGM_RSRC2:TRAP_HANDLER: 0
; COMPUTE_PGM_RSRC2:TGID_X_EN: 1
; COMPUTE_PGM_RSRC2:TGID_Y_EN: 1
; COMPUTE_PGM_RSRC2:TGID_Z_EN: 1
; COMPUTE_PGM_RSRC2:TIDIG_COMP_CNT: 2
	.section	.text._ZL19k_bin_bcast_unravelIXadL_ZL6op_addffEEfffJPKfS1_EEvPKT0_PKT1_PT2_15HIP_vector_typeIjLj3EESB_SB_jSB_SB_SB_SB_SB_SB_iiiiiiiiiiiDpT3_,"axG",@progbits,_ZL19k_bin_bcast_unravelIXadL_ZL6op_addffEEfffJPKfS1_EEvPKT0_PKT1_PT2_15HIP_vector_typeIjLj3EESB_SB_jSB_SB_SB_SB_SB_SB_iiiiiiiiiiiDpT3_,comdat
	.globl	_ZL19k_bin_bcast_unravelIXadL_ZL6op_addffEEfffJPKfS1_EEvPKT0_PKT1_PT2_15HIP_vector_typeIjLj3EESB_SB_jSB_SB_SB_SB_SB_SB_iiiiiiiiiiiDpT3_ ; -- Begin function _ZL19k_bin_bcast_unravelIXadL_ZL6op_addffEEfffJPKfS1_EEvPKT0_PKT1_PT2_15HIP_vector_typeIjLj3EESB_SB_jSB_SB_SB_SB_SB_SB_iiiiiiiiiiiDpT3_
	.p2align	8
	.type	_ZL19k_bin_bcast_unravelIXadL_ZL6op_addffEEfffJPKfS1_EEvPKT0_PKT1_PT2_15HIP_vector_typeIjLj3EESB_SB_jSB_SB_SB_SB_SB_SB_iiiiiiiiiiiDpT3_,@function
_ZL19k_bin_bcast_unravelIXadL_ZL6op_addffEEfffJPKfS1_EEvPKT0_PKT1_PT2_15HIP_vector_typeIjLj3EESB_SB_jSB_SB_SB_SB_SB_SB_iiiiiiiiiiiDpT3_: ; @_ZL19k_bin_bcast_unravelIXadL_ZL6op_addffEEfffJPKfS1_EEvPKT0_PKT1_PT2_15HIP_vector_typeIjLj3EESB_SB_jSB_SB_SB_SB_SB_SB_iiiiiiiiiiiDpT3_
; %bb.0:
	s_load_dword s0, s[4:5], 0xd4
	s_load_dwordx8 s[8:15], s[4:5], 0x38
	s_waitcnt lgkmcnt(0)
	s_and_b32 s0, s0, 0xffff
	s_mul_i32 s6, s6, s0
	v_add_u32_e32 v0, s6, v0
	v_mul_hi_u32 v1, v0, s10
	s_load_dwordx4 s[0:3], s[4:5], 0x18
	s_waitcnt lgkmcnt(0)
	s_load_dword s3, s[4:5], 0x2c
	v_add_u32_e32 v1, v0, v1
	v_lshrrev_b32_e32 v1, s11, v1
	v_mul_lo_u32 v2, v1, s12
	v_sub_u32_e32 v0, v0, v2
	v_mul_hi_u32 v2, v0, s13
	v_add_u32_e32 v2, v0, v2
	v_lshrrev_b32_e32 v3, s14, v2
	v_mul_lo_u32 v2, v3, s15
	v_cmp_gt_u32_e32 vcc, s8, v3
	v_sub_u32_e32 v0, v0, v2
	v_mul_hi_u32 v2, v0, s0
	v_add_u32_e32 v2, v0, v2
	v_lshrrev_b32_e32 v4, s1, v2
	v_mul_lo_u32 v2, v4, s2
	s_waitcnt lgkmcnt(0)
	v_cmp_gt_u32_e64 s[0:1], s3, v4
	v_sub_u32_e32 v0, v0, v2
	v_cmp_gt_u32_e64 s[2:3], s2, v0
	s_and_b64 s[0:1], s[2:3], s[0:1]
	s_and_b64 s[0:1], s[0:1], vcc
	v_cmp_gt_u32_e32 vcc, s9, v1
	s_and_b64 s[0:1], vcc, s[0:1]
	s_and_saveexec_b64 s[2:3], s[0:1]
	s_cbranch_execz .LBB40_4
; %bb.1:
	s_load_dwordx2 s[6:7], s[4:5], 0x0
	s_load_dwordx4 s[0:3], s[4:5], 0xa8
	s_load_dwordx8 s[8:15], s[4:5], 0x88
	s_load_dwordx4 s[24:27], s[4:5], 0x78
	s_load_dwordx8 s[16:23], s[4:5], 0x58
	v_mov_b32_e32 v2, 0
	s_waitcnt lgkmcnt(0)
	s_cmp_eq_u64 s[6:7], 0
	v_mov_b32_e32 v5, 0
	s_cbranch_scc1 .LBB40_3
; %bb.2:
	v_mul_lo_u32 v5, v1, s14
	v_mul_lo_u32 v7, v3, s13
	;; [unrolled: 1-line block ×3, first 2 shown]
	v_mov_b32_e32 v6, 0
	v_mov_b32_e32 v9, s7
	v_add3_u32 v5, v7, v5, v8
	v_lshlrev_b64 v[7:8], 2, v[5:6]
	v_mul_lo_u32 v5, v0, s11
	v_add_co_u32_e32 v7, vcc, s6, v7
	v_addc_co_u32_e32 v8, vcc, v9, v8, vcc
	v_lshlrev_b64 v[5:6], 2, v[5:6]
	v_add_co_u32_e32 v5, vcc, v7, v5
	v_addc_co_u32_e32 v6, vcc, v8, v6, vcc
	global_load_dword v5, v[5:6], off
.LBB40_3:
	v_mul_hi_u32 v6, s19, v4
	v_mul_hi_u32 v7, s22, v3
	;; [unrolled: 1-line block ×4, first 2 shown]
	v_add_u32_e32 v6, v4, v6
	v_add_u32_e32 v7, v3, v7
	;; [unrolled: 1-line block ×3, first 2 shown]
	v_lshrrev_b32_e32 v6, s20, v6
	v_lshrrev_b32_e32 v7, s23, v7
	v_lshrrev_b32_e32 v8, s26, v8
	v_add_u32_e32 v9, v0, v9
	v_mul_lo_u32 v6, v6, s21
	v_mul_lo_u32 v7, v7, s24
	;; [unrolled: 1-line block ×3, first 2 shown]
	v_lshrrev_b32_e32 v9, s17, v9
	v_mul_lo_u32 v9, v9, s18
	v_sub_u32_e32 v6, v4, v6
	v_sub_u32_e32 v7, v3, v7
	;; [unrolled: 1-line block ×3, first 2 shown]
	v_mul_lo_u32 v8, v8, s2
	v_mul_lo_u32 v7, v7, s1
	;; [unrolled: 1-line block ×3, first 2 shown]
	v_sub_u32_e32 v9, v0, v9
	v_mul_lo_u32 v9, v9, s15
	s_load_dwordx4 s[0:3], s[4:5], 0xb8
	v_add3_u32 v6, v7, v8, v6
	v_ashrrev_i32_e32 v7, 31, v6
	v_ashrrev_i32_e32 v8, 31, v9
	v_add_co_u32_e32 v6, vcc, v9, v6
	v_addc_co_u32_e32 v7, vcc, v8, v7, vcc
	v_lshlrev_b64 v[6:7], 2, v[6:7]
	s_waitcnt lgkmcnt(0)
	v_mov_b32_e32 v9, s1
	v_add_co_u32_e32 v8, vcc, s0, v6
	v_addc_co_u32_e32 v9, vcc, v9, v7, vcc
	global_load_dword v8, v[8:9], off
	v_mov_b32_e32 v9, s3
	v_add_co_u32_e32 v6, vcc, s2, v6
	v_addc_co_u32_e32 v7, vcc, v9, v7, vcc
	global_load_dword v6, v[6:7], off
	v_mul_lo_u32 v7, v1, s10
	v_mul_lo_u32 v9, v3, s9
	;; [unrolled: 1-line block ×3, first 2 shown]
	s_load_dwordx2 s[0:1], s[4:5], 0x10
	v_mov_b32_e32 v1, v2
	v_lshlrev_b64 v[3:4], 2, v[0:1]
	v_add3_u32 v1, v9, v7, v10
	v_lshlrev_b64 v[0:1], 2, v[1:2]
	s_waitcnt lgkmcnt(0)
	v_mov_b32_e32 v2, s1
	v_add_co_u32_e32 v0, vcc, s0, v0
	v_addc_co_u32_e32 v1, vcc, v2, v1, vcc
	v_add_co_u32_e32 v0, vcc, v0, v3
	v_addc_co_u32_e32 v1, vcc, v1, v4, vcc
	s_waitcnt vmcnt(1)
	v_add_f32_e32 v2, v5, v8
	s_waitcnt vmcnt(0)
	v_add_f32_e32 v2, v2, v6
	global_store_dword v[0:1], v2, off
.LBB40_4:
	s_endpgm
	.section	.rodata,"a",@progbits
	.p2align	6, 0x0
	.amdhsa_kernel _ZL19k_bin_bcast_unravelIXadL_ZL6op_addffEEfffJPKfS1_EEvPKT0_PKT1_PT2_15HIP_vector_typeIjLj3EESB_SB_jSB_SB_SB_SB_SB_SB_iiiiiiiiiiiDpT3_
		.amdhsa_group_segment_fixed_size 0
		.amdhsa_private_segment_fixed_size 0
		.amdhsa_kernarg_size 456
		.amdhsa_user_sgpr_count 6
		.amdhsa_user_sgpr_private_segment_buffer 1
		.amdhsa_user_sgpr_dispatch_ptr 0
		.amdhsa_user_sgpr_queue_ptr 0
		.amdhsa_user_sgpr_kernarg_segment_ptr 1
		.amdhsa_user_sgpr_dispatch_id 0
		.amdhsa_user_sgpr_flat_scratch_init 0
		.amdhsa_user_sgpr_private_segment_size 0
		.amdhsa_uses_dynamic_stack 0
		.amdhsa_system_sgpr_private_segment_wavefront_offset 0
		.amdhsa_system_sgpr_workgroup_id_x 1
		.amdhsa_system_sgpr_workgroup_id_y 0
		.amdhsa_system_sgpr_workgroup_id_z 0
		.amdhsa_system_sgpr_workgroup_info 0
		.amdhsa_system_vgpr_workitem_id 0
		.amdhsa_next_free_vgpr 11
		.amdhsa_next_free_sgpr 28
		.amdhsa_reserve_vcc 1
		.amdhsa_reserve_flat_scratch 0
		.amdhsa_float_round_mode_32 0
		.amdhsa_float_round_mode_16_64 0
		.amdhsa_float_denorm_mode_32 3
		.amdhsa_float_denorm_mode_16_64 3
		.amdhsa_dx10_clamp 1
		.amdhsa_ieee_mode 1
		.amdhsa_fp16_overflow 0
		.amdhsa_exception_fp_ieee_invalid_op 0
		.amdhsa_exception_fp_denorm_src 0
		.amdhsa_exception_fp_ieee_div_zero 0
		.amdhsa_exception_fp_ieee_overflow 0
		.amdhsa_exception_fp_ieee_underflow 0
		.amdhsa_exception_fp_ieee_inexact 0
		.amdhsa_exception_int_div_zero 0
	.end_amdhsa_kernel
	.section	.text._ZL19k_bin_bcast_unravelIXadL_ZL6op_addffEEfffJPKfS1_EEvPKT0_PKT1_PT2_15HIP_vector_typeIjLj3EESB_SB_jSB_SB_SB_SB_SB_SB_iiiiiiiiiiiDpT3_,"axG",@progbits,_ZL19k_bin_bcast_unravelIXadL_ZL6op_addffEEfffJPKfS1_EEvPKT0_PKT1_PT2_15HIP_vector_typeIjLj3EESB_SB_jSB_SB_SB_SB_SB_SB_iiiiiiiiiiiDpT3_,comdat
.Lfunc_end40:
	.size	_ZL19k_bin_bcast_unravelIXadL_ZL6op_addffEEfffJPKfS1_EEvPKT0_PKT1_PT2_15HIP_vector_typeIjLj3EESB_SB_jSB_SB_SB_SB_SB_SB_iiiiiiiiiiiDpT3_, .Lfunc_end40-_ZL19k_bin_bcast_unravelIXadL_ZL6op_addffEEfffJPKfS1_EEvPKT0_PKT1_PT2_15HIP_vector_typeIjLj3EESB_SB_jSB_SB_SB_SB_SB_SB_iiiiiiiiiiiDpT3_
                                        ; -- End function
	.set _ZL19k_bin_bcast_unravelIXadL_ZL6op_addffEEfffJPKfS1_EEvPKT0_PKT1_PT2_15HIP_vector_typeIjLj3EESB_SB_jSB_SB_SB_SB_SB_SB_iiiiiiiiiiiDpT3_.num_vgpr, 11
	.set _ZL19k_bin_bcast_unravelIXadL_ZL6op_addffEEfffJPKfS1_EEvPKT0_PKT1_PT2_15HIP_vector_typeIjLj3EESB_SB_jSB_SB_SB_SB_SB_SB_iiiiiiiiiiiDpT3_.num_agpr, 0
	.set _ZL19k_bin_bcast_unravelIXadL_ZL6op_addffEEfffJPKfS1_EEvPKT0_PKT1_PT2_15HIP_vector_typeIjLj3EESB_SB_jSB_SB_SB_SB_SB_SB_iiiiiiiiiiiDpT3_.numbered_sgpr, 28
	.set _ZL19k_bin_bcast_unravelIXadL_ZL6op_addffEEfffJPKfS1_EEvPKT0_PKT1_PT2_15HIP_vector_typeIjLj3EESB_SB_jSB_SB_SB_SB_SB_SB_iiiiiiiiiiiDpT3_.num_named_barrier, 0
	.set _ZL19k_bin_bcast_unravelIXadL_ZL6op_addffEEfffJPKfS1_EEvPKT0_PKT1_PT2_15HIP_vector_typeIjLj3EESB_SB_jSB_SB_SB_SB_SB_SB_iiiiiiiiiiiDpT3_.private_seg_size, 0
	.set _ZL19k_bin_bcast_unravelIXadL_ZL6op_addffEEfffJPKfS1_EEvPKT0_PKT1_PT2_15HIP_vector_typeIjLj3EESB_SB_jSB_SB_SB_SB_SB_SB_iiiiiiiiiiiDpT3_.uses_vcc, 1
	.set _ZL19k_bin_bcast_unravelIXadL_ZL6op_addffEEfffJPKfS1_EEvPKT0_PKT1_PT2_15HIP_vector_typeIjLj3EESB_SB_jSB_SB_SB_SB_SB_SB_iiiiiiiiiiiDpT3_.uses_flat_scratch, 0
	.set _ZL19k_bin_bcast_unravelIXadL_ZL6op_addffEEfffJPKfS1_EEvPKT0_PKT1_PT2_15HIP_vector_typeIjLj3EESB_SB_jSB_SB_SB_SB_SB_SB_iiiiiiiiiiiDpT3_.has_dyn_sized_stack, 0
	.set _ZL19k_bin_bcast_unravelIXadL_ZL6op_addffEEfffJPKfS1_EEvPKT0_PKT1_PT2_15HIP_vector_typeIjLj3EESB_SB_jSB_SB_SB_SB_SB_SB_iiiiiiiiiiiDpT3_.has_recursion, 0
	.set _ZL19k_bin_bcast_unravelIXadL_ZL6op_addffEEfffJPKfS1_EEvPKT0_PKT1_PT2_15HIP_vector_typeIjLj3EESB_SB_jSB_SB_SB_SB_SB_SB_iiiiiiiiiiiDpT3_.has_indirect_call, 0
	.section	.AMDGPU.csdata,"",@progbits
; Kernel info:
; codeLenInByte = 676
; TotalNumSgprs: 32
; NumVgprs: 11
; ScratchSize: 0
; MemoryBound: 0
; FloatMode: 240
; IeeeMode: 1
; LDSByteSize: 0 bytes/workgroup (compile time only)
; SGPRBlocks: 3
; VGPRBlocks: 2
; NumSGPRsForWavesPerEU: 32
; NumVGPRsForWavesPerEU: 11
; Occupancy: 10
; WaveLimiterHint : 1
; COMPUTE_PGM_RSRC2:SCRATCH_EN: 0
; COMPUTE_PGM_RSRC2:USER_SGPR: 6
; COMPUTE_PGM_RSRC2:TRAP_HANDLER: 0
; COMPUTE_PGM_RSRC2:TGID_X_EN: 1
; COMPUTE_PGM_RSRC2:TGID_Y_EN: 0
; COMPUTE_PGM_RSRC2:TGID_Z_EN: 0
; COMPUTE_PGM_RSRC2:TIDIG_COMP_CNT: 0
	.section	.text._ZL11k_bin_bcastIXadL_ZL6op_addffEEfffJPKfS1_EEvPKT0_PKT1_PT2_iii15HIP_vector_typeIjLj3EESB_SB_SB_SB_iiiiiiiiiiiDpT3_,"axG",@progbits,_ZL11k_bin_bcastIXadL_ZL6op_addffEEfffJPKfS1_EEvPKT0_PKT1_PT2_iii15HIP_vector_typeIjLj3EESB_SB_SB_SB_iiiiiiiiiiiDpT3_,comdat
	.globl	_ZL11k_bin_bcastIXadL_ZL6op_addffEEfffJPKfS1_EEvPKT0_PKT1_PT2_iii15HIP_vector_typeIjLj3EESB_SB_SB_SB_iiiiiiiiiiiDpT3_ ; -- Begin function _ZL11k_bin_bcastIXadL_ZL6op_addffEEfffJPKfS1_EEvPKT0_PKT1_PT2_iii15HIP_vector_typeIjLj3EESB_SB_SB_SB_iiiiiiiiiiiDpT3_
	.p2align	8
	.type	_ZL11k_bin_bcastIXadL_ZL6op_addffEEfffJPKfS1_EEvPKT0_PKT1_PT2_iii15HIP_vector_typeIjLj3EESB_SB_SB_SB_iiiiiiiiiiiDpT3_,@function
_ZL11k_bin_bcastIXadL_ZL6op_addffEEfffJPKfS1_EEvPKT0_PKT1_PT2_iii15HIP_vector_typeIjLj3EESB_SB_SB_SB_iiiiiiiiiiiDpT3_: ; @_ZL11k_bin_bcastIXadL_ZL6op_addffEEfffJPKfS1_EEvPKT0_PKT1_PT2_iii15HIP_vector_typeIjLj3EESB_SB_SB_SB_iiiiiiiiiiiDpT3_
; %bb.0:
	s_load_dwordx2 s[0:1], s[4:5], 0xac
	s_load_dwordx8 s[12:19], s[4:5], 0x18
	s_add_u32 s2, s4, 0xa0
	s_addc_u32 s3, s5, 0
	s_waitcnt lgkmcnt(0)
	s_and_b32 s1, s1, 0xffff
	s_mul_i32 s8, s8, s1
	v_add_u32_e32 v3, s8, v2
	v_mul_hi_u32 v2, v3, s15
	s_lshr_b32 s1, s0, 16
	s_and_b32 s8, s0, 0xffff
	s_mul_i32 s6, s6, s8
	v_add_u32_e32 v2, v3, v2
	v_lshrrev_b32_e32 v2, s16, v2
	v_mul_lo_u32 v4, v2, s17
	s_mul_i32 s7, s7, s1
	v_add_u32_e32 v0, s6, v0
	v_add_u32_e32 v1, s7, v1
	v_cmp_gt_u32_e32 vcc, s12, v0
	v_cmp_gt_u32_e64 s[0:1], s13, v1
	v_sub_u32_e32 v3, v3, v4
	s_and_b64 s[0:1], vcc, s[0:1]
	v_cmp_gt_u32_e32 vcc, s14, v2
	s_and_b64 s[0:1], s[0:1], vcc
	v_cmp_gt_u32_e32 vcc, s17, v3
	s_and_b64 s[0:1], s[0:1], vcc
	s_and_saveexec_b64 s[6:7], s[0:1]
	s_cbranch_execz .LBB41_6
; %bb.1:
	v_cmp_gt_i32_e32 vcc, s12, v0
	s_and_b64 exec, exec, vcc
	s_cbranch_execz .LBB41_6
; %bb.2:
	s_load_dwordx8 s[44:51], s[4:5], 0x3c
	s_load_dwordx8 s[20:27], s[4:5], 0x60
	;; [unrolled: 1-line block ×3, first 2 shown]
	s_load_dword s6, s[2:3], 0x0
	s_load_dword s0, s[4:5], 0x5c
	s_waitcnt lgkmcnt(0)
	v_mul_hi_u32 v4, s44, v1
	v_mul_hi_u32 v5, s47, v2
	;; [unrolled: 1-line block ×3, first 2 shown]
	v_mul_lo_u32 v7, v3, s26
	v_add_u32_e32 v4, v1, v4
	v_add_u32_e32 v5, v2, v5
	;; [unrolled: 1-line block ×3, first 2 shown]
	v_lshrrev_b32_e32 v4, s45, v4
	v_lshrrev_b32_e32 v5, s48, v5
	;; [unrolled: 1-line block ×3, first 2 shown]
	v_mul_lo_u32 v4, v4, s46
	v_mul_lo_u32 v5, v5, s49
	;; [unrolled: 1-line block ×5, first 2 shown]
	v_sub_u32_e32 v4, v1, v4
	v_sub_u32_e32 v5, v2, v5
	;; [unrolled: 1-line block ×3, first 2 shown]
	s_load_dword s9, s[4:5], 0x38
	s_load_dwordx2 s[0:1], s[4:5], 0x0
	s_load_dwordx2 s[2:3], s[4:5], 0x10
	v_mul_lo_u32 v6, v6, s38
	v_mul_lo_u32 v5, v5, s37
	;; [unrolled: 1-line block ×6, first 2 shown]
	v_add3_u32 v1, v8, v9, v7
	v_mov_b32_e32 v2, 0
	v_mov_b32_e32 v8, v2
	v_lshlrev_b64 v[1:2], 2, v[1:2]
	v_add3_u32 v4, v5, v6, v4
	v_add3_u32 v7, v10, v11, v3
	s_waitcnt lgkmcnt(0)
	v_mov_b32_e32 v3, s1
	v_add_co_u32_e32 v5, vcc, s0, v1
	v_addc_co_u32_e32 v6, vcc, v3, v2, vcc
	v_lshlrev_b64 v[1:2], 2, v[7:8]
	v_mov_b32_e32 v3, s3
	v_add_co_u32_e32 v7, vcc, s2, v1
	v_addc_co_u32_e32 v8, vcc, v3, v2, vcc
	s_cmp_lg_u64 s[0:1], 0
	v_mul_lo_u32 v2, s23, v0
	s_cselect_b64 s[0:1], -1, 0
	s_mul_i32 s6, s6, s8
	v_cndmask_b32_e64 v1, 0, 1, s[0:1]
	s_mov_b64 s[4:5], 0
	s_mul_i32 s7, s6, s23
	s_sub_i32 s8, 0, s9
	v_cmp_ne_u32_e64 s[0:1], 1, v1
	v_mov_b32_e32 v9, s41
	v_mov_b32_e32 v10, s43
	s_branch .LBB41_4
.LBB41_3:                               ;   in Loop: Header=BB41_4 Depth=1
	v_mul_hi_u32 v1, s18, v0
	v_add_u32_e32 v2, s7, v2
	v_add_u32_e32 v1, v0, v1
	v_lshrrev_b32_e32 v1, s19, v1
	v_mad_u64_u32 v[11:12], s[2:3], s8, v1, v[0:1]
	v_mul_lo_u32 v1, v11, s27
	v_add_co_u32_e32 v11, vcc, v1, v4
	v_addc_co_u32_e64 v12, s[2:3], 0, 0, vcc
	v_lshlrev_b64 v[11:12], 2, v[11:12]
	v_ashrrev_i32_e32 v1, 31, v0
	v_add_co_u32_e32 v13, vcc, s40, v11
	v_addc_co_u32_e32 v14, vcc, v9, v12, vcc
	v_add_co_u32_e32 v11, vcc, s42, v11
	global_load_dword v13, v[13:14], off
	v_addc_co_u32_e32 v12, vcc, v10, v12, vcc
	global_load_dword v14, v[11:12], off
	v_lshlrev_b64 v[11:12], 2, v[0:1]
	v_add_u32_e32 v0, s6, v0
	v_cmp_le_i32_e32 vcc, s12, v0
	v_add_co_u32_e64 v11, s[2:3], v7, v11
	v_addc_co_u32_e64 v12, s[2:3], v8, v12, s[2:3]
	s_or_b64 s[4:5], vcc, s[4:5]
	s_waitcnt vmcnt(1)
	v_add_f32_e32 v1, v3, v13
	s_waitcnt vmcnt(0)
	v_add_f32_e32 v1, v1, v14
	global_store_dword v[11:12], v1, off
	s_andn2_b64 exec, exec, s[4:5]
	s_cbranch_execz .LBB41_6
.LBB41_4:                               ; =>This Inner Loop Header: Depth=1
	s_and_b64 vcc, exec, s[0:1]
	v_mov_b32_e32 v3, 0
	s_cbranch_vccnz .LBB41_3
; %bb.5:                                ;   in Loop: Header=BB41_4 Depth=1
	v_ashrrev_i32_e32 v3, 31, v2
	v_lshlrev_b64 v[11:12], 2, v[2:3]
	v_add_co_u32_e32 v11, vcc, v5, v11
	v_addc_co_u32_e32 v12, vcc, v6, v12, vcc
	global_load_dword v3, v[11:12], off
	s_branch .LBB41_3
.LBB41_6:
	s_endpgm
	.section	.rodata,"a",@progbits
	.p2align	6, 0x0
	.amdhsa_kernel _ZL11k_bin_bcastIXadL_ZL6op_addffEEfffJPKfS1_EEvPKT0_PKT1_PT2_iii15HIP_vector_typeIjLj3EESB_SB_SB_SB_iiiiiiiiiiiDpT3_
		.amdhsa_group_segment_fixed_size 0
		.amdhsa_private_segment_fixed_size 0
		.amdhsa_kernarg_size 416
		.amdhsa_user_sgpr_count 6
		.amdhsa_user_sgpr_private_segment_buffer 1
		.amdhsa_user_sgpr_dispatch_ptr 0
		.amdhsa_user_sgpr_queue_ptr 0
		.amdhsa_user_sgpr_kernarg_segment_ptr 1
		.amdhsa_user_sgpr_dispatch_id 0
		.amdhsa_user_sgpr_flat_scratch_init 0
		.amdhsa_user_sgpr_private_segment_size 0
		.amdhsa_uses_dynamic_stack 0
		.amdhsa_system_sgpr_private_segment_wavefront_offset 0
		.amdhsa_system_sgpr_workgroup_id_x 1
		.amdhsa_system_sgpr_workgroup_id_y 1
		.amdhsa_system_sgpr_workgroup_id_z 1
		.amdhsa_system_sgpr_workgroup_info 0
		.amdhsa_system_vgpr_workitem_id 2
		.amdhsa_next_free_vgpr 15
		.amdhsa_next_free_sgpr 52
		.amdhsa_reserve_vcc 1
		.amdhsa_reserve_flat_scratch 0
		.amdhsa_float_round_mode_32 0
		.amdhsa_float_round_mode_16_64 0
		.amdhsa_float_denorm_mode_32 3
		.amdhsa_float_denorm_mode_16_64 3
		.amdhsa_dx10_clamp 1
		.amdhsa_ieee_mode 1
		.amdhsa_fp16_overflow 0
		.amdhsa_exception_fp_ieee_invalid_op 0
		.amdhsa_exception_fp_denorm_src 0
		.amdhsa_exception_fp_ieee_div_zero 0
		.amdhsa_exception_fp_ieee_overflow 0
		.amdhsa_exception_fp_ieee_underflow 0
		.amdhsa_exception_fp_ieee_inexact 0
		.amdhsa_exception_int_div_zero 0
	.end_amdhsa_kernel
	.section	.text._ZL11k_bin_bcastIXadL_ZL6op_addffEEfffJPKfS1_EEvPKT0_PKT1_PT2_iii15HIP_vector_typeIjLj3EESB_SB_SB_SB_iiiiiiiiiiiDpT3_,"axG",@progbits,_ZL11k_bin_bcastIXadL_ZL6op_addffEEfffJPKfS1_EEvPKT0_PKT1_PT2_iii15HIP_vector_typeIjLj3EESB_SB_SB_SB_iiiiiiiiiiiDpT3_,comdat
.Lfunc_end41:
	.size	_ZL11k_bin_bcastIXadL_ZL6op_addffEEfffJPKfS1_EEvPKT0_PKT1_PT2_iii15HIP_vector_typeIjLj3EESB_SB_SB_SB_iiiiiiiiiiiDpT3_, .Lfunc_end41-_ZL11k_bin_bcastIXadL_ZL6op_addffEEfffJPKfS1_EEvPKT0_PKT1_PT2_iii15HIP_vector_typeIjLj3EESB_SB_SB_SB_iiiiiiiiiiiDpT3_
                                        ; -- End function
	.set _ZL11k_bin_bcastIXadL_ZL6op_addffEEfffJPKfS1_EEvPKT0_PKT1_PT2_iii15HIP_vector_typeIjLj3EESB_SB_SB_SB_iiiiiiiiiiiDpT3_.num_vgpr, 15
	.set _ZL11k_bin_bcastIXadL_ZL6op_addffEEfffJPKfS1_EEvPKT0_PKT1_PT2_iii15HIP_vector_typeIjLj3EESB_SB_SB_SB_iiiiiiiiiiiDpT3_.num_agpr, 0
	.set _ZL11k_bin_bcastIXadL_ZL6op_addffEEfffJPKfS1_EEvPKT0_PKT1_PT2_iii15HIP_vector_typeIjLj3EESB_SB_SB_SB_iiiiiiiiiiiDpT3_.numbered_sgpr, 52
	.set _ZL11k_bin_bcastIXadL_ZL6op_addffEEfffJPKfS1_EEvPKT0_PKT1_PT2_iii15HIP_vector_typeIjLj3EESB_SB_SB_SB_iiiiiiiiiiiDpT3_.num_named_barrier, 0
	.set _ZL11k_bin_bcastIXadL_ZL6op_addffEEfffJPKfS1_EEvPKT0_PKT1_PT2_iii15HIP_vector_typeIjLj3EESB_SB_SB_SB_iiiiiiiiiiiDpT3_.private_seg_size, 0
	.set _ZL11k_bin_bcastIXadL_ZL6op_addffEEfffJPKfS1_EEvPKT0_PKT1_PT2_iii15HIP_vector_typeIjLj3EESB_SB_SB_SB_iiiiiiiiiiiDpT3_.uses_vcc, 1
	.set _ZL11k_bin_bcastIXadL_ZL6op_addffEEfffJPKfS1_EEvPKT0_PKT1_PT2_iii15HIP_vector_typeIjLj3EESB_SB_SB_SB_iiiiiiiiiiiDpT3_.uses_flat_scratch, 0
	.set _ZL11k_bin_bcastIXadL_ZL6op_addffEEfffJPKfS1_EEvPKT0_PKT1_PT2_iii15HIP_vector_typeIjLj3EESB_SB_SB_SB_iiiiiiiiiiiDpT3_.has_dyn_sized_stack, 0
	.set _ZL11k_bin_bcastIXadL_ZL6op_addffEEfffJPKfS1_EEvPKT0_PKT1_PT2_iii15HIP_vector_typeIjLj3EESB_SB_SB_SB_iiiiiiiiiiiDpT3_.has_recursion, 0
	.set _ZL11k_bin_bcastIXadL_ZL6op_addffEEfffJPKfS1_EEvPKT0_PKT1_PT2_iii15HIP_vector_typeIjLj3EESB_SB_SB_SB_iiiiiiiiiiiDpT3_.has_indirect_call, 0
	.section	.AMDGPU.csdata,"",@progbits
; Kernel info:
; codeLenInByte = 724
; TotalNumSgprs: 56
; NumVgprs: 15
; ScratchSize: 0
; MemoryBound: 0
; FloatMode: 240
; IeeeMode: 1
; LDSByteSize: 0 bytes/workgroup (compile time only)
; SGPRBlocks: 6
; VGPRBlocks: 3
; NumSGPRsForWavesPerEU: 56
; NumVGPRsForWavesPerEU: 15
; Occupancy: 10
; WaveLimiterHint : 1
; COMPUTE_PGM_RSRC2:SCRATCH_EN: 0
; COMPUTE_PGM_RSRC2:USER_SGPR: 6
; COMPUTE_PGM_RSRC2:TRAP_HANDLER: 0
; COMPUTE_PGM_RSRC2:TGID_X_EN: 1
; COMPUTE_PGM_RSRC2:TGID_Y_EN: 1
; COMPUTE_PGM_RSRC2:TGID_Z_EN: 1
; COMPUTE_PGM_RSRC2:TIDIG_COMP_CNT: 2
	.section	.text._ZL19k_bin_bcast_unravelIXadL_ZL6op_addffEE6__halfS0_S0_JPKS0_S2_EEvPKT0_PKT1_PT2_15HIP_vector_typeIjLj3EESC_SC_jSC_SC_SC_SC_SC_SC_iiiiiiiiiiiDpT3_,"axG",@progbits,_ZL19k_bin_bcast_unravelIXadL_ZL6op_addffEE6__halfS0_S0_JPKS0_S2_EEvPKT0_PKT1_PT2_15HIP_vector_typeIjLj3EESC_SC_jSC_SC_SC_SC_SC_SC_iiiiiiiiiiiDpT3_,comdat
	.globl	_ZL19k_bin_bcast_unravelIXadL_ZL6op_addffEE6__halfS0_S0_JPKS0_S2_EEvPKT0_PKT1_PT2_15HIP_vector_typeIjLj3EESC_SC_jSC_SC_SC_SC_SC_SC_iiiiiiiiiiiDpT3_ ; -- Begin function _ZL19k_bin_bcast_unravelIXadL_ZL6op_addffEE6__halfS0_S0_JPKS0_S2_EEvPKT0_PKT1_PT2_15HIP_vector_typeIjLj3EESC_SC_jSC_SC_SC_SC_SC_SC_iiiiiiiiiiiDpT3_
	.p2align	8
	.type	_ZL19k_bin_bcast_unravelIXadL_ZL6op_addffEE6__halfS0_S0_JPKS0_S2_EEvPKT0_PKT1_PT2_15HIP_vector_typeIjLj3EESC_SC_jSC_SC_SC_SC_SC_SC_iiiiiiiiiiiDpT3_,@function
_ZL19k_bin_bcast_unravelIXadL_ZL6op_addffEE6__halfS0_S0_JPKS0_S2_EEvPKT0_PKT1_PT2_15HIP_vector_typeIjLj3EESC_SC_jSC_SC_SC_SC_SC_SC_iiiiiiiiiiiDpT3_: ; @_ZL19k_bin_bcast_unravelIXadL_ZL6op_addffEE6__halfS0_S0_JPKS0_S2_EEvPKT0_PKT1_PT2_15HIP_vector_typeIjLj3EESC_SC_jSC_SC_SC_SC_SC_SC_iiiiiiiiiiiDpT3_
; %bb.0:
	s_load_dword s0, s[4:5], 0xd4
	s_load_dwordx8 s[8:15], s[4:5], 0x38
	s_waitcnt lgkmcnt(0)
	s_and_b32 s0, s0, 0xffff
	s_mul_i32 s6, s6, s0
	v_add_u32_e32 v0, s6, v0
	v_mul_hi_u32 v1, v0, s10
	s_load_dwordx4 s[0:3], s[4:5], 0x18
	s_waitcnt lgkmcnt(0)
	s_load_dword s3, s[4:5], 0x2c
	v_add_u32_e32 v1, v0, v1
	v_lshrrev_b32_e32 v1, s11, v1
	v_mul_lo_u32 v2, v1, s12
	v_sub_u32_e32 v0, v0, v2
	v_mul_hi_u32 v2, v0, s13
	v_add_u32_e32 v2, v0, v2
	v_lshrrev_b32_e32 v3, s14, v2
	v_mul_lo_u32 v2, v3, s15
	v_cmp_gt_u32_e32 vcc, s8, v3
	v_sub_u32_e32 v0, v0, v2
	v_mul_hi_u32 v2, v0, s0
	v_add_u32_e32 v2, v0, v2
	v_lshrrev_b32_e32 v4, s1, v2
	v_mul_lo_u32 v2, v4, s2
	s_waitcnt lgkmcnt(0)
	v_cmp_gt_u32_e64 s[0:1], s3, v4
	v_sub_u32_e32 v0, v0, v2
	v_cmp_gt_u32_e64 s[2:3], s2, v0
	s_and_b64 s[0:1], s[2:3], s[0:1]
	s_and_b64 s[0:1], s[0:1], vcc
	v_cmp_gt_u32_e32 vcc, s9, v1
	s_and_b64 s[0:1], vcc, s[0:1]
	s_and_saveexec_b64 s[2:3], s[0:1]
	s_cbranch_execz .LBB42_4
; %bb.1:
	s_load_dwordx2 s[6:7], s[4:5], 0x0
	s_load_dwordx4 s[0:3], s[4:5], 0xa8
	s_load_dwordx8 s[8:15], s[4:5], 0x88
	s_load_dwordx4 s[24:27], s[4:5], 0x78
	s_load_dwordx8 s[16:23], s[4:5], 0x58
	v_mov_b32_e32 v2, 0
	s_waitcnt lgkmcnt(0)
	s_cmp_eq_u64 s[6:7], 0
	v_mov_b32_e32 v5, 0
	s_cbranch_scc1 .LBB42_3
; %bb.2:
	v_mul_lo_u32 v5, v1, s14
	v_mul_lo_u32 v7, v3, s13
	;; [unrolled: 1-line block ×3, first 2 shown]
	v_mov_b32_e32 v6, 0
	v_mov_b32_e32 v9, s7
	v_add3_u32 v5, v7, v5, v8
	v_lshlrev_b64 v[7:8], 1, v[5:6]
	v_mul_lo_u32 v5, v0, s11
	v_add_co_u32_e32 v7, vcc, s6, v7
	v_addc_co_u32_e32 v8, vcc, v9, v8, vcc
	v_lshlrev_b64 v[5:6], 1, v[5:6]
	v_add_co_u32_e32 v5, vcc, v7, v5
	v_addc_co_u32_e32 v6, vcc, v8, v6, vcc
	global_load_ushort v5, v[5:6], off
	s_waitcnt vmcnt(0)
	v_cvt_f32_f16_e32 v5, v5
.LBB42_3:
	v_mul_hi_u32 v6, s19, v4
	v_mul_hi_u32 v7, s22, v3
	;; [unrolled: 1-line block ×4, first 2 shown]
	v_add_u32_e32 v6, v4, v6
	v_add_u32_e32 v7, v3, v7
	;; [unrolled: 1-line block ×3, first 2 shown]
	v_lshrrev_b32_e32 v6, s20, v6
	v_lshrrev_b32_e32 v7, s23, v7
	;; [unrolled: 1-line block ×3, first 2 shown]
	v_add_u32_e32 v9, v0, v9
	v_mul_lo_u32 v6, v6, s21
	v_mul_lo_u32 v7, v7, s24
	;; [unrolled: 1-line block ×3, first 2 shown]
	v_lshrrev_b32_e32 v9, s17, v9
	v_mul_lo_u32 v9, v9, s18
	v_sub_u32_e32 v6, v4, v6
	v_sub_u32_e32 v7, v3, v7
	;; [unrolled: 1-line block ×3, first 2 shown]
	v_mul_lo_u32 v8, v8, s2
	v_mul_lo_u32 v7, v7, s1
	;; [unrolled: 1-line block ×3, first 2 shown]
	v_sub_u32_e32 v9, v0, v9
	v_mul_lo_u32 v9, v9, s15
	s_load_dwordx4 s[0:3], s[4:5], 0xb8
	v_add3_u32 v6, v7, v8, v6
	v_ashrrev_i32_e32 v7, 31, v6
	v_ashrrev_i32_e32 v8, 31, v9
	v_add_co_u32_e32 v6, vcc, v9, v6
	v_addc_co_u32_e32 v7, vcc, v8, v7, vcc
	v_lshlrev_b64 v[6:7], 1, v[6:7]
	s_waitcnt lgkmcnt(0)
	v_mov_b32_e32 v9, s1
	v_add_co_u32_e32 v8, vcc, s0, v6
	v_addc_co_u32_e32 v9, vcc, v9, v7, vcc
	global_load_ushort v8, v[8:9], off
	v_mov_b32_e32 v9, s3
	v_add_co_u32_e32 v6, vcc, s2, v6
	v_addc_co_u32_e32 v7, vcc, v9, v7, vcc
	global_load_ushort v6, v[6:7], off
	v_mul_lo_u32 v7, v1, s10
	v_mul_lo_u32 v9, v3, s9
	;; [unrolled: 1-line block ×3, first 2 shown]
	s_load_dwordx2 s[0:1], s[4:5], 0x10
	v_mov_b32_e32 v1, v2
	v_lshlrev_b64 v[3:4], 1, v[0:1]
	v_add3_u32 v1, v9, v7, v10
	v_lshlrev_b64 v[0:1], 1, v[1:2]
	s_waitcnt lgkmcnt(0)
	v_mov_b32_e32 v2, s1
	v_add_co_u32_e32 v0, vcc, s0, v0
	v_addc_co_u32_e32 v1, vcc, v2, v1, vcc
	v_add_co_u32_e32 v0, vcc, v0, v3
	v_addc_co_u32_e32 v1, vcc, v1, v4, vcc
	s_waitcnt vmcnt(1)
	v_cvt_f32_f16_e32 v7, v8
	v_add_f32_e32 v2, v5, v7
	s_waitcnt vmcnt(0)
	v_cvt_f32_f16_e32 v6, v6
	v_add_f32_e32 v2, v2, v6
	v_cvt_f16_f32_e32 v2, v2
	global_store_short v[0:1], v2, off
.LBB42_4:
	s_endpgm
	.section	.rodata,"a",@progbits
	.p2align	6, 0x0
	.amdhsa_kernel _ZL19k_bin_bcast_unravelIXadL_ZL6op_addffEE6__halfS0_S0_JPKS0_S2_EEvPKT0_PKT1_PT2_15HIP_vector_typeIjLj3EESC_SC_jSC_SC_SC_SC_SC_SC_iiiiiiiiiiiDpT3_
		.amdhsa_group_segment_fixed_size 0
		.amdhsa_private_segment_fixed_size 0
		.amdhsa_kernarg_size 456
		.amdhsa_user_sgpr_count 6
		.amdhsa_user_sgpr_private_segment_buffer 1
		.amdhsa_user_sgpr_dispatch_ptr 0
		.amdhsa_user_sgpr_queue_ptr 0
		.amdhsa_user_sgpr_kernarg_segment_ptr 1
		.amdhsa_user_sgpr_dispatch_id 0
		.amdhsa_user_sgpr_flat_scratch_init 0
		.amdhsa_user_sgpr_private_segment_size 0
		.amdhsa_uses_dynamic_stack 0
		.amdhsa_system_sgpr_private_segment_wavefront_offset 0
		.amdhsa_system_sgpr_workgroup_id_x 1
		.amdhsa_system_sgpr_workgroup_id_y 0
		.amdhsa_system_sgpr_workgroup_id_z 0
		.amdhsa_system_sgpr_workgroup_info 0
		.amdhsa_system_vgpr_workitem_id 0
		.amdhsa_next_free_vgpr 11
		.amdhsa_next_free_sgpr 28
		.amdhsa_reserve_vcc 1
		.amdhsa_reserve_flat_scratch 0
		.amdhsa_float_round_mode_32 0
		.amdhsa_float_round_mode_16_64 0
		.amdhsa_float_denorm_mode_32 3
		.amdhsa_float_denorm_mode_16_64 3
		.amdhsa_dx10_clamp 1
		.amdhsa_ieee_mode 1
		.amdhsa_fp16_overflow 0
		.amdhsa_exception_fp_ieee_invalid_op 0
		.amdhsa_exception_fp_denorm_src 0
		.amdhsa_exception_fp_ieee_div_zero 0
		.amdhsa_exception_fp_ieee_overflow 0
		.amdhsa_exception_fp_ieee_underflow 0
		.amdhsa_exception_fp_ieee_inexact 0
		.amdhsa_exception_int_div_zero 0
	.end_amdhsa_kernel
	.section	.text._ZL19k_bin_bcast_unravelIXadL_ZL6op_addffEE6__halfS0_S0_JPKS0_S2_EEvPKT0_PKT1_PT2_15HIP_vector_typeIjLj3EESC_SC_jSC_SC_SC_SC_SC_SC_iiiiiiiiiiiDpT3_,"axG",@progbits,_ZL19k_bin_bcast_unravelIXadL_ZL6op_addffEE6__halfS0_S0_JPKS0_S2_EEvPKT0_PKT1_PT2_15HIP_vector_typeIjLj3EESC_SC_jSC_SC_SC_SC_SC_SC_iiiiiiiiiiiDpT3_,comdat
.Lfunc_end42:
	.size	_ZL19k_bin_bcast_unravelIXadL_ZL6op_addffEE6__halfS0_S0_JPKS0_S2_EEvPKT0_PKT1_PT2_15HIP_vector_typeIjLj3EESC_SC_jSC_SC_SC_SC_SC_SC_iiiiiiiiiiiDpT3_, .Lfunc_end42-_ZL19k_bin_bcast_unravelIXadL_ZL6op_addffEE6__halfS0_S0_JPKS0_S2_EEvPKT0_PKT1_PT2_15HIP_vector_typeIjLj3EESC_SC_jSC_SC_SC_SC_SC_SC_iiiiiiiiiiiDpT3_
                                        ; -- End function
	.set _ZL19k_bin_bcast_unravelIXadL_ZL6op_addffEE6__halfS0_S0_JPKS0_S2_EEvPKT0_PKT1_PT2_15HIP_vector_typeIjLj3EESC_SC_jSC_SC_SC_SC_SC_SC_iiiiiiiiiiiDpT3_.num_vgpr, 11
	.set _ZL19k_bin_bcast_unravelIXadL_ZL6op_addffEE6__halfS0_S0_JPKS0_S2_EEvPKT0_PKT1_PT2_15HIP_vector_typeIjLj3EESC_SC_jSC_SC_SC_SC_SC_SC_iiiiiiiiiiiDpT3_.num_agpr, 0
	.set _ZL19k_bin_bcast_unravelIXadL_ZL6op_addffEE6__halfS0_S0_JPKS0_S2_EEvPKT0_PKT1_PT2_15HIP_vector_typeIjLj3EESC_SC_jSC_SC_SC_SC_SC_SC_iiiiiiiiiiiDpT3_.numbered_sgpr, 28
	.set _ZL19k_bin_bcast_unravelIXadL_ZL6op_addffEE6__halfS0_S0_JPKS0_S2_EEvPKT0_PKT1_PT2_15HIP_vector_typeIjLj3EESC_SC_jSC_SC_SC_SC_SC_SC_iiiiiiiiiiiDpT3_.num_named_barrier, 0
	.set _ZL19k_bin_bcast_unravelIXadL_ZL6op_addffEE6__halfS0_S0_JPKS0_S2_EEvPKT0_PKT1_PT2_15HIP_vector_typeIjLj3EESC_SC_jSC_SC_SC_SC_SC_SC_iiiiiiiiiiiDpT3_.private_seg_size, 0
	.set _ZL19k_bin_bcast_unravelIXadL_ZL6op_addffEE6__halfS0_S0_JPKS0_S2_EEvPKT0_PKT1_PT2_15HIP_vector_typeIjLj3EESC_SC_jSC_SC_SC_SC_SC_SC_iiiiiiiiiiiDpT3_.uses_vcc, 1
	.set _ZL19k_bin_bcast_unravelIXadL_ZL6op_addffEE6__halfS0_S0_JPKS0_S2_EEvPKT0_PKT1_PT2_15HIP_vector_typeIjLj3EESC_SC_jSC_SC_SC_SC_SC_SC_iiiiiiiiiiiDpT3_.uses_flat_scratch, 0
	.set _ZL19k_bin_bcast_unravelIXadL_ZL6op_addffEE6__halfS0_S0_JPKS0_S2_EEvPKT0_PKT1_PT2_15HIP_vector_typeIjLj3EESC_SC_jSC_SC_SC_SC_SC_SC_iiiiiiiiiiiDpT3_.has_dyn_sized_stack, 0
	.set _ZL19k_bin_bcast_unravelIXadL_ZL6op_addffEE6__halfS0_S0_JPKS0_S2_EEvPKT0_PKT1_PT2_15HIP_vector_typeIjLj3EESC_SC_jSC_SC_SC_SC_SC_SC_iiiiiiiiiiiDpT3_.has_recursion, 0
	.set _ZL19k_bin_bcast_unravelIXadL_ZL6op_addffEE6__halfS0_S0_JPKS0_S2_EEvPKT0_PKT1_PT2_15HIP_vector_typeIjLj3EESC_SC_jSC_SC_SC_SC_SC_SC_iiiiiiiiiiiDpT3_.has_indirect_call, 0
	.section	.AMDGPU.csdata,"",@progbits
; Kernel info:
; codeLenInByte = 696
; TotalNumSgprs: 32
; NumVgprs: 11
; ScratchSize: 0
; MemoryBound: 0
; FloatMode: 240
; IeeeMode: 1
; LDSByteSize: 0 bytes/workgroup (compile time only)
; SGPRBlocks: 3
; VGPRBlocks: 2
; NumSGPRsForWavesPerEU: 32
; NumVGPRsForWavesPerEU: 11
; Occupancy: 10
; WaveLimiterHint : 1
; COMPUTE_PGM_RSRC2:SCRATCH_EN: 0
; COMPUTE_PGM_RSRC2:USER_SGPR: 6
; COMPUTE_PGM_RSRC2:TRAP_HANDLER: 0
; COMPUTE_PGM_RSRC2:TGID_X_EN: 1
; COMPUTE_PGM_RSRC2:TGID_Y_EN: 0
; COMPUTE_PGM_RSRC2:TGID_Z_EN: 0
; COMPUTE_PGM_RSRC2:TIDIG_COMP_CNT: 0
	.section	.text._ZL11k_bin_bcastIXadL_ZL6op_addffEE6__halfS0_S0_JPKS0_S2_EEvPKT0_PKT1_PT2_iii15HIP_vector_typeIjLj3EESC_SC_SC_SC_iiiiiiiiiiiDpT3_,"axG",@progbits,_ZL11k_bin_bcastIXadL_ZL6op_addffEE6__halfS0_S0_JPKS0_S2_EEvPKT0_PKT1_PT2_iii15HIP_vector_typeIjLj3EESC_SC_SC_SC_iiiiiiiiiiiDpT3_,comdat
	.globl	_ZL11k_bin_bcastIXadL_ZL6op_addffEE6__halfS0_S0_JPKS0_S2_EEvPKT0_PKT1_PT2_iii15HIP_vector_typeIjLj3EESC_SC_SC_SC_iiiiiiiiiiiDpT3_ ; -- Begin function _ZL11k_bin_bcastIXadL_ZL6op_addffEE6__halfS0_S0_JPKS0_S2_EEvPKT0_PKT1_PT2_iii15HIP_vector_typeIjLj3EESC_SC_SC_SC_iiiiiiiiiiiDpT3_
	.p2align	8
	.type	_ZL11k_bin_bcastIXadL_ZL6op_addffEE6__halfS0_S0_JPKS0_S2_EEvPKT0_PKT1_PT2_iii15HIP_vector_typeIjLj3EESC_SC_SC_SC_iiiiiiiiiiiDpT3_,@function
_ZL11k_bin_bcastIXadL_ZL6op_addffEE6__halfS0_S0_JPKS0_S2_EEvPKT0_PKT1_PT2_iii15HIP_vector_typeIjLj3EESC_SC_SC_SC_iiiiiiiiiiiDpT3_: ; @_ZL11k_bin_bcastIXadL_ZL6op_addffEE6__halfS0_S0_JPKS0_S2_EEvPKT0_PKT1_PT2_iii15HIP_vector_typeIjLj3EESC_SC_SC_SC_iiiiiiiiiiiDpT3_
; %bb.0:
	s_load_dwordx2 s[0:1], s[4:5], 0xac
	s_load_dwordx8 s[12:19], s[4:5], 0x18
	s_add_u32 s2, s4, 0xa0
	s_addc_u32 s3, s5, 0
	s_waitcnt lgkmcnt(0)
	s_and_b32 s1, s1, 0xffff
	s_mul_i32 s8, s8, s1
	v_add_u32_e32 v3, s8, v2
	v_mul_hi_u32 v2, v3, s15
	s_lshr_b32 s1, s0, 16
	s_and_b32 s8, s0, 0xffff
	s_mul_i32 s6, s6, s8
	v_add_u32_e32 v2, v3, v2
	v_lshrrev_b32_e32 v2, s16, v2
	v_mul_lo_u32 v4, v2, s17
	s_mul_i32 s7, s7, s1
	v_add_u32_e32 v0, s6, v0
	v_add_u32_e32 v1, s7, v1
	v_cmp_gt_u32_e32 vcc, s12, v0
	v_cmp_gt_u32_e64 s[0:1], s13, v1
	v_sub_u32_e32 v3, v3, v4
	s_and_b64 s[0:1], vcc, s[0:1]
	v_cmp_gt_u32_e32 vcc, s14, v2
	s_and_b64 s[0:1], s[0:1], vcc
	v_cmp_gt_u32_e32 vcc, s17, v3
	s_and_b64 s[0:1], s[0:1], vcc
	s_and_saveexec_b64 s[6:7], s[0:1]
	s_cbranch_execz .LBB43_6
; %bb.1:
	v_cmp_gt_i32_e32 vcc, s12, v0
	s_and_b64 exec, exec, vcc
	s_cbranch_execz .LBB43_6
; %bb.2:
	s_load_dwordx8 s[44:51], s[4:5], 0x3c
	s_load_dwordx8 s[20:27], s[4:5], 0x60
	;; [unrolled: 1-line block ×3, first 2 shown]
	s_load_dword s6, s[2:3], 0x0
	s_load_dword s0, s[4:5], 0x5c
	s_waitcnt lgkmcnt(0)
	v_mul_hi_u32 v4, s44, v1
	v_mul_hi_u32 v5, s47, v2
	;; [unrolled: 1-line block ×3, first 2 shown]
	v_mul_lo_u32 v7, v3, s26
	v_add_u32_e32 v4, v1, v4
	v_add_u32_e32 v5, v2, v5
	;; [unrolled: 1-line block ×3, first 2 shown]
	v_lshrrev_b32_e32 v4, s45, v4
	v_lshrrev_b32_e32 v5, s48, v5
	;; [unrolled: 1-line block ×3, first 2 shown]
	v_mul_lo_u32 v4, v4, s46
	v_mul_lo_u32 v5, v5, s49
	;; [unrolled: 1-line block ×5, first 2 shown]
	v_sub_u32_e32 v4, v1, v4
	v_sub_u32_e32 v5, v2, v5
	;; [unrolled: 1-line block ×3, first 2 shown]
	s_load_dword s9, s[4:5], 0x38
	s_load_dwordx2 s[0:1], s[4:5], 0x0
	s_load_dwordx2 s[2:3], s[4:5], 0x10
	v_mul_lo_u32 v6, v6, s38
	v_mul_lo_u32 v5, v5, s37
	;; [unrolled: 1-line block ×6, first 2 shown]
	v_add3_u32 v1, v8, v9, v7
	v_mov_b32_e32 v2, 0
	v_mov_b32_e32 v8, v2
	v_lshlrev_b64 v[1:2], 1, v[1:2]
	v_add3_u32 v4, v5, v6, v4
	v_add3_u32 v7, v10, v11, v3
	s_waitcnt lgkmcnt(0)
	v_mov_b32_e32 v3, s1
	v_add_co_u32_e32 v5, vcc, s0, v1
	v_addc_co_u32_e32 v6, vcc, v3, v2, vcc
	v_lshlrev_b64 v[1:2], 1, v[7:8]
	v_mov_b32_e32 v3, s3
	v_add_co_u32_e32 v7, vcc, s2, v1
	v_addc_co_u32_e32 v8, vcc, v3, v2, vcc
	s_cmp_lg_u64 s[0:1], 0
	v_mul_lo_u32 v2, s23, v0
	s_cselect_b64 s[0:1], -1, 0
	s_mul_i32 s6, s6, s8
	v_cndmask_b32_e64 v1, 0, 1, s[0:1]
	s_mov_b64 s[4:5], 0
	s_mul_i32 s7, s6, s23
	s_sub_i32 s8, 0, s9
	v_cmp_ne_u32_e64 s[0:1], 1, v1
	v_mov_b32_e32 v9, s41
	v_mov_b32_e32 v10, s43
	s_branch .LBB43_4
.LBB43_3:                               ;   in Loop: Header=BB43_4 Depth=1
	v_mul_hi_u32 v1, s18, v0
	v_add_u32_e32 v2, s7, v2
	v_add_u32_e32 v1, v0, v1
	v_lshrrev_b32_e32 v1, s19, v1
	v_mad_u64_u32 v[11:12], s[2:3], s8, v1, v[0:1]
	v_mul_lo_u32 v1, v11, s27
	v_add_co_u32_e32 v11, vcc, v1, v4
	v_addc_co_u32_e64 v12, s[2:3], 0, 0, vcc
	v_lshlrev_b64 v[11:12], 1, v[11:12]
	v_ashrrev_i32_e32 v1, 31, v0
	v_add_co_u32_e32 v13, vcc, s40, v11
	v_addc_co_u32_e32 v14, vcc, v9, v12, vcc
	v_add_co_u32_e32 v11, vcc, s42, v11
	global_load_ushort v13, v[13:14], off
	v_addc_co_u32_e32 v12, vcc, v10, v12, vcc
	global_load_ushort v14, v[11:12], off
	v_lshlrev_b64 v[11:12], 1, v[0:1]
	v_add_u32_e32 v0, s6, v0
	v_cmp_le_i32_e32 vcc, s12, v0
	v_add_co_u32_e64 v11, s[2:3], v7, v11
	v_addc_co_u32_e64 v12, s[2:3], v8, v12, s[2:3]
	s_or_b64 s[4:5], vcc, s[4:5]
	s_waitcnt vmcnt(1)
	v_cvt_f32_f16_e32 v1, v13
	s_waitcnt vmcnt(0)
	v_cvt_f32_f16_e32 v13, v14
	v_add_f32_e32 v1, v3, v1
	v_add_f32_e32 v1, v1, v13
	v_cvt_f16_f32_e32 v1, v1
	global_store_short v[11:12], v1, off
	s_andn2_b64 exec, exec, s[4:5]
	s_cbranch_execz .LBB43_6
.LBB43_4:                               ; =>This Inner Loop Header: Depth=1
	s_and_b64 vcc, exec, s[0:1]
	v_mov_b32_e32 v3, 0
	s_cbranch_vccnz .LBB43_3
; %bb.5:                                ;   in Loop: Header=BB43_4 Depth=1
	v_ashrrev_i32_e32 v3, 31, v2
	v_lshlrev_b64 v[11:12], 1, v[2:3]
	v_add_co_u32_e32 v11, vcc, v5, v11
	v_addc_co_u32_e32 v12, vcc, v6, v12, vcc
	global_load_ushort v1, v[11:12], off
	s_waitcnt vmcnt(0)
	v_cvt_f32_f16_e32 v3, v1
	s_branch .LBB43_3
.LBB43_6:
	s_endpgm
	.section	.rodata,"a",@progbits
	.p2align	6, 0x0
	.amdhsa_kernel _ZL11k_bin_bcastIXadL_ZL6op_addffEE6__halfS0_S0_JPKS0_S2_EEvPKT0_PKT1_PT2_iii15HIP_vector_typeIjLj3EESC_SC_SC_SC_iiiiiiiiiiiDpT3_
		.amdhsa_group_segment_fixed_size 0
		.amdhsa_private_segment_fixed_size 0
		.amdhsa_kernarg_size 416
		.amdhsa_user_sgpr_count 6
		.amdhsa_user_sgpr_private_segment_buffer 1
		.amdhsa_user_sgpr_dispatch_ptr 0
		.amdhsa_user_sgpr_queue_ptr 0
		.amdhsa_user_sgpr_kernarg_segment_ptr 1
		.amdhsa_user_sgpr_dispatch_id 0
		.amdhsa_user_sgpr_flat_scratch_init 0
		.amdhsa_user_sgpr_private_segment_size 0
		.amdhsa_uses_dynamic_stack 0
		.amdhsa_system_sgpr_private_segment_wavefront_offset 0
		.amdhsa_system_sgpr_workgroup_id_x 1
		.amdhsa_system_sgpr_workgroup_id_y 1
		.amdhsa_system_sgpr_workgroup_id_z 1
		.amdhsa_system_sgpr_workgroup_info 0
		.amdhsa_system_vgpr_workitem_id 2
		.amdhsa_next_free_vgpr 15
		.amdhsa_next_free_sgpr 52
		.amdhsa_reserve_vcc 1
		.amdhsa_reserve_flat_scratch 0
		.amdhsa_float_round_mode_32 0
		.amdhsa_float_round_mode_16_64 0
		.amdhsa_float_denorm_mode_32 3
		.amdhsa_float_denorm_mode_16_64 3
		.amdhsa_dx10_clamp 1
		.amdhsa_ieee_mode 1
		.amdhsa_fp16_overflow 0
		.amdhsa_exception_fp_ieee_invalid_op 0
		.amdhsa_exception_fp_denorm_src 0
		.amdhsa_exception_fp_ieee_div_zero 0
		.amdhsa_exception_fp_ieee_overflow 0
		.amdhsa_exception_fp_ieee_underflow 0
		.amdhsa_exception_fp_ieee_inexact 0
		.amdhsa_exception_int_div_zero 0
	.end_amdhsa_kernel
	.section	.text._ZL11k_bin_bcastIXadL_ZL6op_addffEE6__halfS0_S0_JPKS0_S2_EEvPKT0_PKT1_PT2_iii15HIP_vector_typeIjLj3EESC_SC_SC_SC_iiiiiiiiiiiDpT3_,"axG",@progbits,_ZL11k_bin_bcastIXadL_ZL6op_addffEE6__halfS0_S0_JPKS0_S2_EEvPKT0_PKT1_PT2_iii15HIP_vector_typeIjLj3EESC_SC_SC_SC_iiiiiiiiiiiDpT3_,comdat
.Lfunc_end43:
	.size	_ZL11k_bin_bcastIXadL_ZL6op_addffEE6__halfS0_S0_JPKS0_S2_EEvPKT0_PKT1_PT2_iii15HIP_vector_typeIjLj3EESC_SC_SC_SC_iiiiiiiiiiiDpT3_, .Lfunc_end43-_ZL11k_bin_bcastIXadL_ZL6op_addffEE6__halfS0_S0_JPKS0_S2_EEvPKT0_PKT1_PT2_iii15HIP_vector_typeIjLj3EESC_SC_SC_SC_iiiiiiiiiiiDpT3_
                                        ; -- End function
	.set _ZL11k_bin_bcastIXadL_ZL6op_addffEE6__halfS0_S0_JPKS0_S2_EEvPKT0_PKT1_PT2_iii15HIP_vector_typeIjLj3EESC_SC_SC_SC_iiiiiiiiiiiDpT3_.num_vgpr, 15
	.set _ZL11k_bin_bcastIXadL_ZL6op_addffEE6__halfS0_S0_JPKS0_S2_EEvPKT0_PKT1_PT2_iii15HIP_vector_typeIjLj3EESC_SC_SC_SC_iiiiiiiiiiiDpT3_.num_agpr, 0
	.set _ZL11k_bin_bcastIXadL_ZL6op_addffEE6__halfS0_S0_JPKS0_S2_EEvPKT0_PKT1_PT2_iii15HIP_vector_typeIjLj3EESC_SC_SC_SC_iiiiiiiiiiiDpT3_.numbered_sgpr, 52
	.set _ZL11k_bin_bcastIXadL_ZL6op_addffEE6__halfS0_S0_JPKS0_S2_EEvPKT0_PKT1_PT2_iii15HIP_vector_typeIjLj3EESC_SC_SC_SC_iiiiiiiiiiiDpT3_.num_named_barrier, 0
	.set _ZL11k_bin_bcastIXadL_ZL6op_addffEE6__halfS0_S0_JPKS0_S2_EEvPKT0_PKT1_PT2_iii15HIP_vector_typeIjLj3EESC_SC_SC_SC_iiiiiiiiiiiDpT3_.private_seg_size, 0
	.set _ZL11k_bin_bcastIXadL_ZL6op_addffEE6__halfS0_S0_JPKS0_S2_EEvPKT0_PKT1_PT2_iii15HIP_vector_typeIjLj3EESC_SC_SC_SC_iiiiiiiiiiiDpT3_.uses_vcc, 1
	.set _ZL11k_bin_bcastIXadL_ZL6op_addffEE6__halfS0_S0_JPKS0_S2_EEvPKT0_PKT1_PT2_iii15HIP_vector_typeIjLj3EESC_SC_SC_SC_iiiiiiiiiiiDpT3_.uses_flat_scratch, 0
	.set _ZL11k_bin_bcastIXadL_ZL6op_addffEE6__halfS0_S0_JPKS0_S2_EEvPKT0_PKT1_PT2_iii15HIP_vector_typeIjLj3EESC_SC_SC_SC_iiiiiiiiiiiDpT3_.has_dyn_sized_stack, 0
	.set _ZL11k_bin_bcastIXadL_ZL6op_addffEE6__halfS0_S0_JPKS0_S2_EEvPKT0_PKT1_PT2_iii15HIP_vector_typeIjLj3EESC_SC_SC_SC_iiiiiiiiiiiDpT3_.has_recursion, 0
	.set _ZL11k_bin_bcastIXadL_ZL6op_addffEE6__halfS0_S0_JPKS0_S2_EEvPKT0_PKT1_PT2_iii15HIP_vector_typeIjLj3EESC_SC_SC_SC_iiiiiiiiiiiDpT3_.has_indirect_call, 0
	.section	.AMDGPU.csdata,"",@progbits
; Kernel info:
; codeLenInByte = 744
; TotalNumSgprs: 56
; NumVgprs: 15
; ScratchSize: 0
; MemoryBound: 0
; FloatMode: 240
; IeeeMode: 1
; LDSByteSize: 0 bytes/workgroup (compile time only)
; SGPRBlocks: 6
; VGPRBlocks: 3
; NumSGPRsForWavesPerEU: 56
; NumVGPRsForWavesPerEU: 15
; Occupancy: 10
; WaveLimiterHint : 1
; COMPUTE_PGM_RSRC2:SCRATCH_EN: 0
; COMPUTE_PGM_RSRC2:USER_SGPR: 6
; COMPUTE_PGM_RSRC2:TRAP_HANDLER: 0
; COMPUTE_PGM_RSRC2:TGID_X_EN: 1
; COMPUTE_PGM_RSRC2:TGID_Y_EN: 1
; COMPUTE_PGM_RSRC2:TGID_Z_EN: 1
; COMPUTE_PGM_RSRC2:TIDIG_COMP_CNT: 2
	.section	.text._ZL19k_bin_bcast_unravelIXadL_ZL6op_addffEE6__halffS0_JPKfS2_EEvPKT0_PKT1_PT2_15HIP_vector_typeIjLj3EESC_SC_jSC_SC_SC_SC_SC_SC_iiiiiiiiiiiDpT3_,"axG",@progbits,_ZL19k_bin_bcast_unravelIXadL_ZL6op_addffEE6__halffS0_JPKfS2_EEvPKT0_PKT1_PT2_15HIP_vector_typeIjLj3EESC_SC_jSC_SC_SC_SC_SC_SC_iiiiiiiiiiiDpT3_,comdat
	.globl	_ZL19k_bin_bcast_unravelIXadL_ZL6op_addffEE6__halffS0_JPKfS2_EEvPKT0_PKT1_PT2_15HIP_vector_typeIjLj3EESC_SC_jSC_SC_SC_SC_SC_SC_iiiiiiiiiiiDpT3_ ; -- Begin function _ZL19k_bin_bcast_unravelIXadL_ZL6op_addffEE6__halffS0_JPKfS2_EEvPKT0_PKT1_PT2_15HIP_vector_typeIjLj3EESC_SC_jSC_SC_SC_SC_SC_SC_iiiiiiiiiiiDpT3_
	.p2align	8
	.type	_ZL19k_bin_bcast_unravelIXadL_ZL6op_addffEE6__halffS0_JPKfS2_EEvPKT0_PKT1_PT2_15HIP_vector_typeIjLj3EESC_SC_jSC_SC_SC_SC_SC_SC_iiiiiiiiiiiDpT3_,@function
_ZL19k_bin_bcast_unravelIXadL_ZL6op_addffEE6__halffS0_JPKfS2_EEvPKT0_PKT1_PT2_15HIP_vector_typeIjLj3EESC_SC_jSC_SC_SC_SC_SC_SC_iiiiiiiiiiiDpT3_: ; @_ZL19k_bin_bcast_unravelIXadL_ZL6op_addffEE6__halffS0_JPKfS2_EEvPKT0_PKT1_PT2_15HIP_vector_typeIjLj3EESC_SC_jSC_SC_SC_SC_SC_SC_iiiiiiiiiiiDpT3_
; %bb.0:
	s_load_dword s0, s[4:5], 0xd4
	s_load_dwordx8 s[8:15], s[4:5], 0x38
	s_waitcnt lgkmcnt(0)
	s_and_b32 s0, s0, 0xffff
	s_mul_i32 s6, s6, s0
	v_add_u32_e32 v0, s6, v0
	v_mul_hi_u32 v1, v0, s10
	s_load_dwordx4 s[0:3], s[4:5], 0x18
	s_waitcnt lgkmcnt(0)
	s_load_dword s3, s[4:5], 0x2c
	v_add_u32_e32 v1, v0, v1
	v_lshrrev_b32_e32 v1, s11, v1
	v_mul_lo_u32 v2, v1, s12
	v_sub_u32_e32 v0, v0, v2
	v_mul_hi_u32 v2, v0, s13
	v_add_u32_e32 v2, v0, v2
	v_lshrrev_b32_e32 v3, s14, v2
	v_mul_lo_u32 v2, v3, s15
	v_cmp_gt_u32_e32 vcc, s8, v3
	v_sub_u32_e32 v0, v0, v2
	v_mul_hi_u32 v2, v0, s0
	v_add_u32_e32 v2, v0, v2
	v_lshrrev_b32_e32 v4, s1, v2
	v_mul_lo_u32 v2, v4, s2
	s_waitcnt lgkmcnt(0)
	v_cmp_gt_u32_e64 s[0:1], s3, v4
	v_sub_u32_e32 v0, v0, v2
	v_cmp_gt_u32_e64 s[2:3], s2, v0
	s_and_b64 s[0:1], s[2:3], s[0:1]
	s_and_b64 s[0:1], s[0:1], vcc
	v_cmp_gt_u32_e32 vcc, s9, v1
	s_and_b64 s[0:1], vcc, s[0:1]
	s_and_saveexec_b64 s[2:3], s[0:1]
	s_cbranch_execz .LBB44_4
; %bb.1:
	s_load_dwordx2 s[6:7], s[4:5], 0x0
	s_load_dwordx4 s[0:3], s[4:5], 0xa8
	s_load_dwordx8 s[8:15], s[4:5], 0x88
	s_load_dwordx4 s[24:27], s[4:5], 0x78
	s_load_dwordx8 s[16:23], s[4:5], 0x58
	v_mov_b32_e32 v2, 0
	s_waitcnt lgkmcnt(0)
	s_cmp_eq_u64 s[6:7], 0
	v_mov_b32_e32 v5, 0
	s_cbranch_scc1 .LBB44_3
; %bb.2:
	v_mul_lo_u32 v5, v1, s14
	v_mul_lo_u32 v7, v3, s13
	;; [unrolled: 1-line block ×3, first 2 shown]
	v_mov_b32_e32 v6, 0
	v_mov_b32_e32 v9, s7
	v_add3_u32 v5, v7, v5, v8
	v_lshlrev_b64 v[7:8], 1, v[5:6]
	v_mul_lo_u32 v5, v0, s11
	v_add_co_u32_e32 v7, vcc, s6, v7
	v_addc_co_u32_e32 v8, vcc, v9, v8, vcc
	v_lshlrev_b64 v[5:6], 1, v[5:6]
	v_add_co_u32_e32 v5, vcc, v7, v5
	v_addc_co_u32_e32 v6, vcc, v8, v6, vcc
	global_load_ushort v5, v[5:6], off
	s_waitcnt vmcnt(0)
	v_cvt_f32_f16_e32 v5, v5
.LBB44_3:
	v_mul_hi_u32 v6, s19, v4
	v_mul_hi_u32 v7, s22, v3
	;; [unrolled: 1-line block ×4, first 2 shown]
	v_add_u32_e32 v6, v4, v6
	v_add_u32_e32 v7, v3, v7
	;; [unrolled: 1-line block ×3, first 2 shown]
	v_lshrrev_b32_e32 v6, s20, v6
	v_lshrrev_b32_e32 v7, s23, v7
	;; [unrolled: 1-line block ×3, first 2 shown]
	v_add_u32_e32 v9, v0, v9
	v_mul_lo_u32 v6, v6, s21
	v_mul_lo_u32 v7, v7, s24
	;; [unrolled: 1-line block ×3, first 2 shown]
	v_lshrrev_b32_e32 v9, s17, v9
	v_mul_lo_u32 v9, v9, s18
	v_sub_u32_e32 v6, v4, v6
	v_sub_u32_e32 v7, v3, v7
	;; [unrolled: 1-line block ×3, first 2 shown]
	v_mul_lo_u32 v8, v8, s2
	v_mul_lo_u32 v7, v7, s1
	;; [unrolled: 1-line block ×3, first 2 shown]
	v_sub_u32_e32 v9, v0, v9
	v_mul_lo_u32 v9, v9, s15
	s_load_dwordx4 s[0:3], s[4:5], 0xb8
	v_add3_u32 v6, v7, v8, v6
	v_ashrrev_i32_e32 v7, 31, v6
	v_ashrrev_i32_e32 v8, 31, v9
	v_add_co_u32_e32 v6, vcc, v9, v6
	v_addc_co_u32_e32 v7, vcc, v8, v7, vcc
	v_lshlrev_b64 v[6:7], 2, v[6:7]
	s_waitcnt lgkmcnt(0)
	v_mov_b32_e32 v9, s1
	v_add_co_u32_e32 v8, vcc, s0, v6
	v_addc_co_u32_e32 v9, vcc, v9, v7, vcc
	global_load_dword v8, v[8:9], off
	v_mov_b32_e32 v9, s3
	v_add_co_u32_e32 v6, vcc, s2, v6
	v_addc_co_u32_e32 v7, vcc, v9, v7, vcc
	global_load_dword v6, v[6:7], off
	v_mul_lo_u32 v7, v1, s10
	v_mul_lo_u32 v9, v3, s9
	;; [unrolled: 1-line block ×3, first 2 shown]
	s_load_dwordx2 s[0:1], s[4:5], 0x10
	v_mov_b32_e32 v1, v2
	v_lshlrev_b64 v[3:4], 1, v[0:1]
	v_add3_u32 v1, v9, v7, v10
	v_lshlrev_b64 v[0:1], 1, v[1:2]
	s_waitcnt lgkmcnt(0)
	v_mov_b32_e32 v2, s1
	v_add_co_u32_e32 v0, vcc, s0, v0
	v_addc_co_u32_e32 v1, vcc, v2, v1, vcc
	v_add_co_u32_e32 v0, vcc, v0, v3
	v_addc_co_u32_e32 v1, vcc, v1, v4, vcc
	s_waitcnt vmcnt(1)
	v_add_f32_e32 v2, v5, v8
	s_waitcnt vmcnt(0)
	v_add_f32_e32 v2, v2, v6
	v_cvt_f16_f32_e32 v2, v2
	global_store_short v[0:1], v2, off
.LBB44_4:
	s_endpgm
	.section	.rodata,"a",@progbits
	.p2align	6, 0x0
	.amdhsa_kernel _ZL19k_bin_bcast_unravelIXadL_ZL6op_addffEE6__halffS0_JPKfS2_EEvPKT0_PKT1_PT2_15HIP_vector_typeIjLj3EESC_SC_jSC_SC_SC_SC_SC_SC_iiiiiiiiiiiDpT3_
		.amdhsa_group_segment_fixed_size 0
		.amdhsa_private_segment_fixed_size 0
		.amdhsa_kernarg_size 456
		.amdhsa_user_sgpr_count 6
		.amdhsa_user_sgpr_private_segment_buffer 1
		.amdhsa_user_sgpr_dispatch_ptr 0
		.amdhsa_user_sgpr_queue_ptr 0
		.amdhsa_user_sgpr_kernarg_segment_ptr 1
		.amdhsa_user_sgpr_dispatch_id 0
		.amdhsa_user_sgpr_flat_scratch_init 0
		.amdhsa_user_sgpr_private_segment_size 0
		.amdhsa_uses_dynamic_stack 0
		.amdhsa_system_sgpr_private_segment_wavefront_offset 0
		.amdhsa_system_sgpr_workgroup_id_x 1
		.amdhsa_system_sgpr_workgroup_id_y 0
		.amdhsa_system_sgpr_workgroup_id_z 0
		.amdhsa_system_sgpr_workgroup_info 0
		.amdhsa_system_vgpr_workitem_id 0
		.amdhsa_next_free_vgpr 11
		.amdhsa_next_free_sgpr 28
		.amdhsa_reserve_vcc 1
		.amdhsa_reserve_flat_scratch 0
		.amdhsa_float_round_mode_32 0
		.amdhsa_float_round_mode_16_64 0
		.amdhsa_float_denorm_mode_32 3
		.amdhsa_float_denorm_mode_16_64 3
		.amdhsa_dx10_clamp 1
		.amdhsa_ieee_mode 1
		.amdhsa_fp16_overflow 0
		.amdhsa_exception_fp_ieee_invalid_op 0
		.amdhsa_exception_fp_denorm_src 0
		.amdhsa_exception_fp_ieee_div_zero 0
		.amdhsa_exception_fp_ieee_overflow 0
		.amdhsa_exception_fp_ieee_underflow 0
		.amdhsa_exception_fp_ieee_inexact 0
		.amdhsa_exception_int_div_zero 0
	.end_amdhsa_kernel
	.section	.text._ZL19k_bin_bcast_unravelIXadL_ZL6op_addffEE6__halffS0_JPKfS2_EEvPKT0_PKT1_PT2_15HIP_vector_typeIjLj3EESC_SC_jSC_SC_SC_SC_SC_SC_iiiiiiiiiiiDpT3_,"axG",@progbits,_ZL19k_bin_bcast_unravelIXadL_ZL6op_addffEE6__halffS0_JPKfS2_EEvPKT0_PKT1_PT2_15HIP_vector_typeIjLj3EESC_SC_jSC_SC_SC_SC_SC_SC_iiiiiiiiiiiDpT3_,comdat
.Lfunc_end44:
	.size	_ZL19k_bin_bcast_unravelIXadL_ZL6op_addffEE6__halffS0_JPKfS2_EEvPKT0_PKT1_PT2_15HIP_vector_typeIjLj3EESC_SC_jSC_SC_SC_SC_SC_SC_iiiiiiiiiiiDpT3_, .Lfunc_end44-_ZL19k_bin_bcast_unravelIXadL_ZL6op_addffEE6__halffS0_JPKfS2_EEvPKT0_PKT1_PT2_15HIP_vector_typeIjLj3EESC_SC_jSC_SC_SC_SC_SC_SC_iiiiiiiiiiiDpT3_
                                        ; -- End function
	.set _ZL19k_bin_bcast_unravelIXadL_ZL6op_addffEE6__halffS0_JPKfS2_EEvPKT0_PKT1_PT2_15HIP_vector_typeIjLj3EESC_SC_jSC_SC_SC_SC_SC_SC_iiiiiiiiiiiDpT3_.num_vgpr, 11
	.set _ZL19k_bin_bcast_unravelIXadL_ZL6op_addffEE6__halffS0_JPKfS2_EEvPKT0_PKT1_PT2_15HIP_vector_typeIjLj3EESC_SC_jSC_SC_SC_SC_SC_SC_iiiiiiiiiiiDpT3_.num_agpr, 0
	.set _ZL19k_bin_bcast_unravelIXadL_ZL6op_addffEE6__halffS0_JPKfS2_EEvPKT0_PKT1_PT2_15HIP_vector_typeIjLj3EESC_SC_jSC_SC_SC_SC_SC_SC_iiiiiiiiiiiDpT3_.numbered_sgpr, 28
	.set _ZL19k_bin_bcast_unravelIXadL_ZL6op_addffEE6__halffS0_JPKfS2_EEvPKT0_PKT1_PT2_15HIP_vector_typeIjLj3EESC_SC_jSC_SC_SC_SC_SC_SC_iiiiiiiiiiiDpT3_.num_named_barrier, 0
	.set _ZL19k_bin_bcast_unravelIXadL_ZL6op_addffEE6__halffS0_JPKfS2_EEvPKT0_PKT1_PT2_15HIP_vector_typeIjLj3EESC_SC_jSC_SC_SC_SC_SC_SC_iiiiiiiiiiiDpT3_.private_seg_size, 0
	.set _ZL19k_bin_bcast_unravelIXadL_ZL6op_addffEE6__halffS0_JPKfS2_EEvPKT0_PKT1_PT2_15HIP_vector_typeIjLj3EESC_SC_jSC_SC_SC_SC_SC_SC_iiiiiiiiiiiDpT3_.uses_vcc, 1
	.set _ZL19k_bin_bcast_unravelIXadL_ZL6op_addffEE6__halffS0_JPKfS2_EEvPKT0_PKT1_PT2_15HIP_vector_typeIjLj3EESC_SC_jSC_SC_SC_SC_SC_SC_iiiiiiiiiiiDpT3_.uses_flat_scratch, 0
	.set _ZL19k_bin_bcast_unravelIXadL_ZL6op_addffEE6__halffS0_JPKfS2_EEvPKT0_PKT1_PT2_15HIP_vector_typeIjLj3EESC_SC_jSC_SC_SC_SC_SC_SC_iiiiiiiiiiiDpT3_.has_dyn_sized_stack, 0
	.set _ZL19k_bin_bcast_unravelIXadL_ZL6op_addffEE6__halffS0_JPKfS2_EEvPKT0_PKT1_PT2_15HIP_vector_typeIjLj3EESC_SC_jSC_SC_SC_SC_SC_SC_iiiiiiiiiiiDpT3_.has_recursion, 0
	.set _ZL19k_bin_bcast_unravelIXadL_ZL6op_addffEE6__halffS0_JPKfS2_EEvPKT0_PKT1_PT2_15HIP_vector_typeIjLj3EESC_SC_jSC_SC_SC_SC_SC_SC_iiiiiiiiiiiDpT3_.has_indirect_call, 0
	.section	.AMDGPU.csdata,"",@progbits
; Kernel info:
; codeLenInByte = 688
; TotalNumSgprs: 32
; NumVgprs: 11
; ScratchSize: 0
; MemoryBound: 0
; FloatMode: 240
; IeeeMode: 1
; LDSByteSize: 0 bytes/workgroup (compile time only)
; SGPRBlocks: 3
; VGPRBlocks: 2
; NumSGPRsForWavesPerEU: 32
; NumVGPRsForWavesPerEU: 11
; Occupancy: 10
; WaveLimiterHint : 1
; COMPUTE_PGM_RSRC2:SCRATCH_EN: 0
; COMPUTE_PGM_RSRC2:USER_SGPR: 6
; COMPUTE_PGM_RSRC2:TRAP_HANDLER: 0
; COMPUTE_PGM_RSRC2:TGID_X_EN: 1
; COMPUTE_PGM_RSRC2:TGID_Y_EN: 0
; COMPUTE_PGM_RSRC2:TGID_Z_EN: 0
; COMPUTE_PGM_RSRC2:TIDIG_COMP_CNT: 0
	.section	.text._ZL11k_bin_bcastIXadL_ZL6op_addffEE6__halffS0_JPKfS2_EEvPKT0_PKT1_PT2_iii15HIP_vector_typeIjLj3EESC_SC_SC_SC_iiiiiiiiiiiDpT3_,"axG",@progbits,_ZL11k_bin_bcastIXadL_ZL6op_addffEE6__halffS0_JPKfS2_EEvPKT0_PKT1_PT2_iii15HIP_vector_typeIjLj3EESC_SC_SC_SC_iiiiiiiiiiiDpT3_,comdat
	.globl	_ZL11k_bin_bcastIXadL_ZL6op_addffEE6__halffS0_JPKfS2_EEvPKT0_PKT1_PT2_iii15HIP_vector_typeIjLj3EESC_SC_SC_SC_iiiiiiiiiiiDpT3_ ; -- Begin function _ZL11k_bin_bcastIXadL_ZL6op_addffEE6__halffS0_JPKfS2_EEvPKT0_PKT1_PT2_iii15HIP_vector_typeIjLj3EESC_SC_SC_SC_iiiiiiiiiiiDpT3_
	.p2align	8
	.type	_ZL11k_bin_bcastIXadL_ZL6op_addffEE6__halffS0_JPKfS2_EEvPKT0_PKT1_PT2_iii15HIP_vector_typeIjLj3EESC_SC_SC_SC_iiiiiiiiiiiDpT3_,@function
_ZL11k_bin_bcastIXadL_ZL6op_addffEE6__halffS0_JPKfS2_EEvPKT0_PKT1_PT2_iii15HIP_vector_typeIjLj3EESC_SC_SC_SC_iiiiiiiiiiiDpT3_: ; @_ZL11k_bin_bcastIXadL_ZL6op_addffEE6__halffS0_JPKfS2_EEvPKT0_PKT1_PT2_iii15HIP_vector_typeIjLj3EESC_SC_SC_SC_iiiiiiiiiiiDpT3_
; %bb.0:
	s_load_dwordx2 s[0:1], s[4:5], 0xac
	s_load_dwordx8 s[12:19], s[4:5], 0x18
	s_add_u32 s2, s4, 0xa0
	s_addc_u32 s3, s5, 0
	s_waitcnt lgkmcnt(0)
	s_and_b32 s1, s1, 0xffff
	s_mul_i32 s8, s8, s1
	v_add_u32_e32 v3, s8, v2
	v_mul_hi_u32 v2, v3, s15
	s_lshr_b32 s1, s0, 16
	s_and_b32 s8, s0, 0xffff
	s_mul_i32 s6, s6, s8
	v_add_u32_e32 v2, v3, v2
	v_lshrrev_b32_e32 v2, s16, v2
	v_mul_lo_u32 v4, v2, s17
	s_mul_i32 s7, s7, s1
	v_add_u32_e32 v0, s6, v0
	v_add_u32_e32 v1, s7, v1
	v_cmp_gt_u32_e32 vcc, s12, v0
	v_cmp_gt_u32_e64 s[0:1], s13, v1
	v_sub_u32_e32 v3, v3, v4
	s_and_b64 s[0:1], vcc, s[0:1]
	v_cmp_gt_u32_e32 vcc, s14, v2
	s_and_b64 s[0:1], s[0:1], vcc
	v_cmp_gt_u32_e32 vcc, s17, v3
	s_and_b64 s[0:1], s[0:1], vcc
	s_and_saveexec_b64 s[6:7], s[0:1]
	s_cbranch_execz .LBB45_6
; %bb.1:
	v_cmp_gt_i32_e32 vcc, s12, v0
	s_and_b64 exec, exec, vcc
	s_cbranch_execz .LBB45_6
; %bb.2:
	s_load_dwordx8 s[44:51], s[4:5], 0x3c
	s_load_dwordx8 s[20:27], s[4:5], 0x60
	;; [unrolled: 1-line block ×3, first 2 shown]
	s_load_dword s6, s[2:3], 0x0
	s_load_dword s0, s[4:5], 0x5c
	s_waitcnt lgkmcnt(0)
	v_mul_hi_u32 v4, s44, v1
	v_mul_hi_u32 v5, s47, v2
	;; [unrolled: 1-line block ×3, first 2 shown]
	v_mul_lo_u32 v7, v3, s26
	v_add_u32_e32 v4, v1, v4
	v_add_u32_e32 v5, v2, v5
	;; [unrolled: 1-line block ×3, first 2 shown]
	v_lshrrev_b32_e32 v4, s45, v4
	v_lshrrev_b32_e32 v5, s48, v5
	;; [unrolled: 1-line block ×3, first 2 shown]
	v_mul_lo_u32 v4, v4, s46
	v_mul_lo_u32 v5, v5, s49
	;; [unrolled: 1-line block ×5, first 2 shown]
	v_sub_u32_e32 v4, v1, v4
	v_sub_u32_e32 v5, v2, v5
	;; [unrolled: 1-line block ×3, first 2 shown]
	s_load_dword s9, s[4:5], 0x38
	s_load_dwordx2 s[0:1], s[4:5], 0x0
	s_load_dwordx2 s[2:3], s[4:5], 0x10
	v_mul_lo_u32 v6, v6, s38
	v_mul_lo_u32 v5, v5, s37
	;; [unrolled: 1-line block ×6, first 2 shown]
	v_add3_u32 v1, v8, v9, v7
	v_mov_b32_e32 v2, 0
	v_mov_b32_e32 v8, v2
	v_lshlrev_b64 v[1:2], 1, v[1:2]
	v_add3_u32 v4, v5, v6, v4
	v_add3_u32 v7, v10, v11, v3
	s_waitcnt lgkmcnt(0)
	v_mov_b32_e32 v3, s1
	v_add_co_u32_e32 v5, vcc, s0, v1
	v_addc_co_u32_e32 v6, vcc, v3, v2, vcc
	v_lshlrev_b64 v[1:2], 1, v[7:8]
	v_mov_b32_e32 v3, s3
	v_add_co_u32_e32 v7, vcc, s2, v1
	v_addc_co_u32_e32 v8, vcc, v3, v2, vcc
	s_cmp_lg_u64 s[0:1], 0
	v_mul_lo_u32 v2, s23, v0
	s_cselect_b64 s[0:1], -1, 0
	s_mul_i32 s6, s6, s8
	v_cndmask_b32_e64 v1, 0, 1, s[0:1]
	s_mov_b64 s[4:5], 0
	s_mul_i32 s7, s6, s23
	s_sub_i32 s8, 0, s9
	v_cmp_ne_u32_e64 s[0:1], 1, v1
	v_mov_b32_e32 v9, s41
	v_mov_b32_e32 v10, s43
	s_branch .LBB45_4
.LBB45_3:                               ;   in Loop: Header=BB45_4 Depth=1
	v_mul_hi_u32 v1, s18, v0
	v_add_u32_e32 v2, s7, v2
	v_add_u32_e32 v1, v0, v1
	v_lshrrev_b32_e32 v1, s19, v1
	v_mad_u64_u32 v[11:12], s[2:3], s8, v1, v[0:1]
	v_mul_lo_u32 v1, v11, s27
	v_add_co_u32_e32 v11, vcc, v1, v4
	v_addc_co_u32_e64 v12, s[2:3], 0, 0, vcc
	v_lshlrev_b64 v[11:12], 2, v[11:12]
	v_ashrrev_i32_e32 v1, 31, v0
	v_add_co_u32_e32 v13, vcc, s40, v11
	v_addc_co_u32_e32 v14, vcc, v9, v12, vcc
	v_add_co_u32_e32 v11, vcc, s42, v11
	global_load_dword v13, v[13:14], off
	v_addc_co_u32_e32 v12, vcc, v10, v12, vcc
	global_load_dword v14, v[11:12], off
	v_lshlrev_b64 v[11:12], 1, v[0:1]
	v_add_u32_e32 v0, s6, v0
	v_cmp_le_i32_e32 vcc, s12, v0
	v_add_co_u32_e64 v11, s[2:3], v7, v11
	v_addc_co_u32_e64 v12, s[2:3], v8, v12, s[2:3]
	s_or_b64 s[4:5], vcc, s[4:5]
	s_waitcnt vmcnt(1)
	v_add_f32_e32 v1, v3, v13
	s_waitcnt vmcnt(0)
	v_add_f32_e32 v1, v1, v14
	v_cvt_f16_f32_e32 v1, v1
	global_store_short v[11:12], v1, off
	s_andn2_b64 exec, exec, s[4:5]
	s_cbranch_execz .LBB45_6
.LBB45_4:                               ; =>This Inner Loop Header: Depth=1
	s_and_b64 vcc, exec, s[0:1]
	v_mov_b32_e32 v3, 0
	s_cbranch_vccnz .LBB45_3
; %bb.5:                                ;   in Loop: Header=BB45_4 Depth=1
	v_ashrrev_i32_e32 v3, 31, v2
	v_lshlrev_b64 v[11:12], 1, v[2:3]
	v_add_co_u32_e32 v11, vcc, v5, v11
	v_addc_co_u32_e32 v12, vcc, v6, v12, vcc
	global_load_ushort v1, v[11:12], off
	s_waitcnt vmcnt(0)
	v_cvt_f32_f16_e32 v3, v1
	s_branch .LBB45_3
.LBB45_6:
	s_endpgm
	.section	.rodata,"a",@progbits
	.p2align	6, 0x0
	.amdhsa_kernel _ZL11k_bin_bcastIXadL_ZL6op_addffEE6__halffS0_JPKfS2_EEvPKT0_PKT1_PT2_iii15HIP_vector_typeIjLj3EESC_SC_SC_SC_iiiiiiiiiiiDpT3_
		.amdhsa_group_segment_fixed_size 0
		.amdhsa_private_segment_fixed_size 0
		.amdhsa_kernarg_size 416
		.amdhsa_user_sgpr_count 6
		.amdhsa_user_sgpr_private_segment_buffer 1
		.amdhsa_user_sgpr_dispatch_ptr 0
		.amdhsa_user_sgpr_queue_ptr 0
		.amdhsa_user_sgpr_kernarg_segment_ptr 1
		.amdhsa_user_sgpr_dispatch_id 0
		.amdhsa_user_sgpr_flat_scratch_init 0
		.amdhsa_user_sgpr_private_segment_size 0
		.amdhsa_uses_dynamic_stack 0
		.amdhsa_system_sgpr_private_segment_wavefront_offset 0
		.amdhsa_system_sgpr_workgroup_id_x 1
		.amdhsa_system_sgpr_workgroup_id_y 1
		.amdhsa_system_sgpr_workgroup_id_z 1
		.amdhsa_system_sgpr_workgroup_info 0
		.amdhsa_system_vgpr_workitem_id 2
		.amdhsa_next_free_vgpr 15
		.amdhsa_next_free_sgpr 52
		.amdhsa_reserve_vcc 1
		.amdhsa_reserve_flat_scratch 0
		.amdhsa_float_round_mode_32 0
		.amdhsa_float_round_mode_16_64 0
		.amdhsa_float_denorm_mode_32 3
		.amdhsa_float_denorm_mode_16_64 3
		.amdhsa_dx10_clamp 1
		.amdhsa_ieee_mode 1
		.amdhsa_fp16_overflow 0
		.amdhsa_exception_fp_ieee_invalid_op 0
		.amdhsa_exception_fp_denorm_src 0
		.amdhsa_exception_fp_ieee_div_zero 0
		.amdhsa_exception_fp_ieee_overflow 0
		.amdhsa_exception_fp_ieee_underflow 0
		.amdhsa_exception_fp_ieee_inexact 0
		.amdhsa_exception_int_div_zero 0
	.end_amdhsa_kernel
	.section	.text._ZL11k_bin_bcastIXadL_ZL6op_addffEE6__halffS0_JPKfS2_EEvPKT0_PKT1_PT2_iii15HIP_vector_typeIjLj3EESC_SC_SC_SC_iiiiiiiiiiiDpT3_,"axG",@progbits,_ZL11k_bin_bcastIXadL_ZL6op_addffEE6__halffS0_JPKfS2_EEvPKT0_PKT1_PT2_iii15HIP_vector_typeIjLj3EESC_SC_SC_SC_iiiiiiiiiiiDpT3_,comdat
.Lfunc_end45:
	.size	_ZL11k_bin_bcastIXadL_ZL6op_addffEE6__halffS0_JPKfS2_EEvPKT0_PKT1_PT2_iii15HIP_vector_typeIjLj3EESC_SC_SC_SC_iiiiiiiiiiiDpT3_, .Lfunc_end45-_ZL11k_bin_bcastIXadL_ZL6op_addffEE6__halffS0_JPKfS2_EEvPKT0_PKT1_PT2_iii15HIP_vector_typeIjLj3EESC_SC_SC_SC_iiiiiiiiiiiDpT3_
                                        ; -- End function
	.set _ZL11k_bin_bcastIXadL_ZL6op_addffEE6__halffS0_JPKfS2_EEvPKT0_PKT1_PT2_iii15HIP_vector_typeIjLj3EESC_SC_SC_SC_iiiiiiiiiiiDpT3_.num_vgpr, 15
	.set _ZL11k_bin_bcastIXadL_ZL6op_addffEE6__halffS0_JPKfS2_EEvPKT0_PKT1_PT2_iii15HIP_vector_typeIjLj3EESC_SC_SC_SC_iiiiiiiiiiiDpT3_.num_agpr, 0
	.set _ZL11k_bin_bcastIXadL_ZL6op_addffEE6__halffS0_JPKfS2_EEvPKT0_PKT1_PT2_iii15HIP_vector_typeIjLj3EESC_SC_SC_SC_iiiiiiiiiiiDpT3_.numbered_sgpr, 52
	.set _ZL11k_bin_bcastIXadL_ZL6op_addffEE6__halffS0_JPKfS2_EEvPKT0_PKT1_PT2_iii15HIP_vector_typeIjLj3EESC_SC_SC_SC_iiiiiiiiiiiDpT3_.num_named_barrier, 0
	.set _ZL11k_bin_bcastIXadL_ZL6op_addffEE6__halffS0_JPKfS2_EEvPKT0_PKT1_PT2_iii15HIP_vector_typeIjLj3EESC_SC_SC_SC_iiiiiiiiiiiDpT3_.private_seg_size, 0
	.set _ZL11k_bin_bcastIXadL_ZL6op_addffEE6__halffS0_JPKfS2_EEvPKT0_PKT1_PT2_iii15HIP_vector_typeIjLj3EESC_SC_SC_SC_iiiiiiiiiiiDpT3_.uses_vcc, 1
	.set _ZL11k_bin_bcastIXadL_ZL6op_addffEE6__halffS0_JPKfS2_EEvPKT0_PKT1_PT2_iii15HIP_vector_typeIjLj3EESC_SC_SC_SC_iiiiiiiiiiiDpT3_.uses_flat_scratch, 0
	.set _ZL11k_bin_bcastIXadL_ZL6op_addffEE6__halffS0_JPKfS2_EEvPKT0_PKT1_PT2_iii15HIP_vector_typeIjLj3EESC_SC_SC_SC_iiiiiiiiiiiDpT3_.has_dyn_sized_stack, 0
	.set _ZL11k_bin_bcastIXadL_ZL6op_addffEE6__halffS0_JPKfS2_EEvPKT0_PKT1_PT2_iii15HIP_vector_typeIjLj3EESC_SC_SC_SC_iiiiiiiiiiiDpT3_.has_recursion, 0
	.set _ZL11k_bin_bcastIXadL_ZL6op_addffEE6__halffS0_JPKfS2_EEvPKT0_PKT1_PT2_iii15HIP_vector_typeIjLj3EESC_SC_SC_SC_iiiiiiiiiiiDpT3_.has_indirect_call, 0
	.section	.AMDGPU.csdata,"",@progbits
; Kernel info:
; codeLenInByte = 736
; TotalNumSgprs: 56
; NumVgprs: 15
; ScratchSize: 0
; MemoryBound: 0
; FloatMode: 240
; IeeeMode: 1
; LDSByteSize: 0 bytes/workgroup (compile time only)
; SGPRBlocks: 6
; VGPRBlocks: 3
; NumSGPRsForWavesPerEU: 56
; NumVGPRsForWavesPerEU: 15
; Occupancy: 10
; WaveLimiterHint : 1
; COMPUTE_PGM_RSRC2:SCRATCH_EN: 0
; COMPUTE_PGM_RSRC2:USER_SGPR: 6
; COMPUTE_PGM_RSRC2:TRAP_HANDLER: 0
; COMPUTE_PGM_RSRC2:TGID_X_EN: 1
; COMPUTE_PGM_RSRC2:TGID_Y_EN: 1
; COMPUTE_PGM_RSRC2:TGID_Z_EN: 1
; COMPUTE_PGM_RSRC2:TIDIG_COMP_CNT: 2
	.section	.text._ZL19k_bin_bcast_unravelIXadL_ZL6op_addffEE6__halfffJPKfS2_EEvPKT0_PKT1_PT2_15HIP_vector_typeIjLj3EESC_SC_jSC_SC_SC_SC_SC_SC_iiiiiiiiiiiDpT3_,"axG",@progbits,_ZL19k_bin_bcast_unravelIXadL_ZL6op_addffEE6__halfffJPKfS2_EEvPKT0_PKT1_PT2_15HIP_vector_typeIjLj3EESC_SC_jSC_SC_SC_SC_SC_SC_iiiiiiiiiiiDpT3_,comdat
	.globl	_ZL19k_bin_bcast_unravelIXadL_ZL6op_addffEE6__halfffJPKfS2_EEvPKT0_PKT1_PT2_15HIP_vector_typeIjLj3EESC_SC_jSC_SC_SC_SC_SC_SC_iiiiiiiiiiiDpT3_ ; -- Begin function _ZL19k_bin_bcast_unravelIXadL_ZL6op_addffEE6__halfffJPKfS2_EEvPKT0_PKT1_PT2_15HIP_vector_typeIjLj3EESC_SC_jSC_SC_SC_SC_SC_SC_iiiiiiiiiiiDpT3_
	.p2align	8
	.type	_ZL19k_bin_bcast_unravelIXadL_ZL6op_addffEE6__halfffJPKfS2_EEvPKT0_PKT1_PT2_15HIP_vector_typeIjLj3EESC_SC_jSC_SC_SC_SC_SC_SC_iiiiiiiiiiiDpT3_,@function
_ZL19k_bin_bcast_unravelIXadL_ZL6op_addffEE6__halfffJPKfS2_EEvPKT0_PKT1_PT2_15HIP_vector_typeIjLj3EESC_SC_jSC_SC_SC_SC_SC_SC_iiiiiiiiiiiDpT3_: ; @_ZL19k_bin_bcast_unravelIXadL_ZL6op_addffEE6__halfffJPKfS2_EEvPKT0_PKT1_PT2_15HIP_vector_typeIjLj3EESC_SC_jSC_SC_SC_SC_SC_SC_iiiiiiiiiiiDpT3_
; %bb.0:
	s_load_dword s0, s[4:5], 0xd4
	s_load_dwordx8 s[8:15], s[4:5], 0x38
	s_waitcnt lgkmcnt(0)
	s_and_b32 s0, s0, 0xffff
	s_mul_i32 s6, s6, s0
	v_add_u32_e32 v0, s6, v0
	v_mul_hi_u32 v1, v0, s10
	s_load_dwordx4 s[0:3], s[4:5], 0x18
	s_waitcnt lgkmcnt(0)
	s_load_dword s3, s[4:5], 0x2c
	v_add_u32_e32 v1, v0, v1
	v_lshrrev_b32_e32 v1, s11, v1
	v_mul_lo_u32 v2, v1, s12
	v_sub_u32_e32 v0, v0, v2
	v_mul_hi_u32 v2, v0, s13
	v_add_u32_e32 v2, v0, v2
	v_lshrrev_b32_e32 v3, s14, v2
	v_mul_lo_u32 v2, v3, s15
	v_cmp_gt_u32_e32 vcc, s8, v3
	v_sub_u32_e32 v0, v0, v2
	v_mul_hi_u32 v2, v0, s0
	v_add_u32_e32 v2, v0, v2
	v_lshrrev_b32_e32 v4, s1, v2
	v_mul_lo_u32 v2, v4, s2
	s_waitcnt lgkmcnt(0)
	v_cmp_gt_u32_e64 s[0:1], s3, v4
	v_sub_u32_e32 v0, v0, v2
	v_cmp_gt_u32_e64 s[2:3], s2, v0
	s_and_b64 s[0:1], s[2:3], s[0:1]
	s_and_b64 s[0:1], s[0:1], vcc
	v_cmp_gt_u32_e32 vcc, s9, v1
	s_and_b64 s[0:1], vcc, s[0:1]
	s_and_saveexec_b64 s[2:3], s[0:1]
	s_cbranch_execz .LBB46_4
; %bb.1:
	s_load_dwordx2 s[6:7], s[4:5], 0x0
	s_load_dwordx4 s[0:3], s[4:5], 0xa8
	s_load_dwordx8 s[8:15], s[4:5], 0x88
	s_load_dwordx4 s[24:27], s[4:5], 0x78
	s_load_dwordx8 s[16:23], s[4:5], 0x58
	v_mov_b32_e32 v2, 0
	s_waitcnt lgkmcnt(0)
	s_cmp_eq_u64 s[6:7], 0
	v_mov_b32_e32 v5, 0
	s_cbranch_scc1 .LBB46_3
; %bb.2:
	v_mul_lo_u32 v5, v1, s14
	v_mul_lo_u32 v7, v3, s13
	;; [unrolled: 1-line block ×3, first 2 shown]
	v_mov_b32_e32 v6, 0
	v_mov_b32_e32 v9, s7
	v_add3_u32 v5, v7, v5, v8
	v_lshlrev_b64 v[7:8], 1, v[5:6]
	v_mul_lo_u32 v5, v0, s11
	v_add_co_u32_e32 v7, vcc, s6, v7
	v_addc_co_u32_e32 v8, vcc, v9, v8, vcc
	v_lshlrev_b64 v[5:6], 1, v[5:6]
	v_add_co_u32_e32 v5, vcc, v7, v5
	v_addc_co_u32_e32 v6, vcc, v8, v6, vcc
	global_load_ushort v5, v[5:6], off
	s_waitcnt vmcnt(0)
	v_cvt_f32_f16_e32 v5, v5
.LBB46_3:
	v_mul_hi_u32 v6, s19, v4
	v_mul_hi_u32 v7, s22, v3
	;; [unrolled: 1-line block ×4, first 2 shown]
	v_add_u32_e32 v6, v4, v6
	v_add_u32_e32 v7, v3, v7
	;; [unrolled: 1-line block ×3, first 2 shown]
	v_lshrrev_b32_e32 v6, s20, v6
	v_lshrrev_b32_e32 v7, s23, v7
	;; [unrolled: 1-line block ×3, first 2 shown]
	v_add_u32_e32 v9, v0, v9
	v_mul_lo_u32 v6, v6, s21
	v_mul_lo_u32 v7, v7, s24
	;; [unrolled: 1-line block ×3, first 2 shown]
	v_lshrrev_b32_e32 v9, s17, v9
	v_mul_lo_u32 v9, v9, s18
	v_sub_u32_e32 v6, v4, v6
	v_sub_u32_e32 v7, v3, v7
	;; [unrolled: 1-line block ×3, first 2 shown]
	v_mul_lo_u32 v8, v8, s2
	v_mul_lo_u32 v7, v7, s1
	;; [unrolled: 1-line block ×3, first 2 shown]
	v_sub_u32_e32 v9, v0, v9
	v_mul_lo_u32 v9, v9, s15
	s_load_dwordx4 s[0:3], s[4:5], 0xb8
	v_add3_u32 v6, v7, v8, v6
	v_ashrrev_i32_e32 v7, 31, v6
	v_ashrrev_i32_e32 v8, 31, v9
	v_add_co_u32_e32 v6, vcc, v9, v6
	v_addc_co_u32_e32 v7, vcc, v8, v7, vcc
	v_lshlrev_b64 v[6:7], 2, v[6:7]
	s_waitcnt lgkmcnt(0)
	v_mov_b32_e32 v9, s1
	v_add_co_u32_e32 v8, vcc, s0, v6
	v_addc_co_u32_e32 v9, vcc, v9, v7, vcc
	global_load_dword v8, v[8:9], off
	v_mov_b32_e32 v9, s3
	v_add_co_u32_e32 v6, vcc, s2, v6
	v_addc_co_u32_e32 v7, vcc, v9, v7, vcc
	global_load_dword v6, v[6:7], off
	v_mul_lo_u32 v7, v1, s10
	v_mul_lo_u32 v9, v3, s9
	;; [unrolled: 1-line block ×3, first 2 shown]
	s_load_dwordx2 s[0:1], s[4:5], 0x10
	v_mov_b32_e32 v1, v2
	v_lshlrev_b64 v[3:4], 2, v[0:1]
	v_add3_u32 v1, v9, v7, v10
	v_lshlrev_b64 v[0:1], 2, v[1:2]
	s_waitcnt lgkmcnt(0)
	v_mov_b32_e32 v2, s1
	v_add_co_u32_e32 v0, vcc, s0, v0
	v_addc_co_u32_e32 v1, vcc, v2, v1, vcc
	v_add_co_u32_e32 v0, vcc, v0, v3
	v_addc_co_u32_e32 v1, vcc, v1, v4, vcc
	s_waitcnt vmcnt(1)
	v_add_f32_e32 v2, v5, v8
	s_waitcnt vmcnt(0)
	v_add_f32_e32 v2, v2, v6
	global_store_dword v[0:1], v2, off
.LBB46_4:
	s_endpgm
	.section	.rodata,"a",@progbits
	.p2align	6, 0x0
	.amdhsa_kernel _ZL19k_bin_bcast_unravelIXadL_ZL6op_addffEE6__halfffJPKfS2_EEvPKT0_PKT1_PT2_15HIP_vector_typeIjLj3EESC_SC_jSC_SC_SC_SC_SC_SC_iiiiiiiiiiiDpT3_
		.amdhsa_group_segment_fixed_size 0
		.amdhsa_private_segment_fixed_size 0
		.amdhsa_kernarg_size 456
		.amdhsa_user_sgpr_count 6
		.amdhsa_user_sgpr_private_segment_buffer 1
		.amdhsa_user_sgpr_dispatch_ptr 0
		.amdhsa_user_sgpr_queue_ptr 0
		.amdhsa_user_sgpr_kernarg_segment_ptr 1
		.amdhsa_user_sgpr_dispatch_id 0
		.amdhsa_user_sgpr_flat_scratch_init 0
		.amdhsa_user_sgpr_private_segment_size 0
		.amdhsa_uses_dynamic_stack 0
		.amdhsa_system_sgpr_private_segment_wavefront_offset 0
		.amdhsa_system_sgpr_workgroup_id_x 1
		.amdhsa_system_sgpr_workgroup_id_y 0
		.amdhsa_system_sgpr_workgroup_id_z 0
		.amdhsa_system_sgpr_workgroup_info 0
		.amdhsa_system_vgpr_workitem_id 0
		.amdhsa_next_free_vgpr 11
		.amdhsa_next_free_sgpr 28
		.amdhsa_reserve_vcc 1
		.amdhsa_reserve_flat_scratch 0
		.amdhsa_float_round_mode_32 0
		.amdhsa_float_round_mode_16_64 0
		.amdhsa_float_denorm_mode_32 3
		.amdhsa_float_denorm_mode_16_64 3
		.amdhsa_dx10_clamp 1
		.amdhsa_ieee_mode 1
		.amdhsa_fp16_overflow 0
		.amdhsa_exception_fp_ieee_invalid_op 0
		.amdhsa_exception_fp_denorm_src 0
		.amdhsa_exception_fp_ieee_div_zero 0
		.amdhsa_exception_fp_ieee_overflow 0
		.amdhsa_exception_fp_ieee_underflow 0
		.amdhsa_exception_fp_ieee_inexact 0
		.amdhsa_exception_int_div_zero 0
	.end_amdhsa_kernel
	.section	.text._ZL19k_bin_bcast_unravelIXadL_ZL6op_addffEE6__halfffJPKfS2_EEvPKT0_PKT1_PT2_15HIP_vector_typeIjLj3EESC_SC_jSC_SC_SC_SC_SC_SC_iiiiiiiiiiiDpT3_,"axG",@progbits,_ZL19k_bin_bcast_unravelIXadL_ZL6op_addffEE6__halfffJPKfS2_EEvPKT0_PKT1_PT2_15HIP_vector_typeIjLj3EESC_SC_jSC_SC_SC_SC_SC_SC_iiiiiiiiiiiDpT3_,comdat
.Lfunc_end46:
	.size	_ZL19k_bin_bcast_unravelIXadL_ZL6op_addffEE6__halfffJPKfS2_EEvPKT0_PKT1_PT2_15HIP_vector_typeIjLj3EESC_SC_jSC_SC_SC_SC_SC_SC_iiiiiiiiiiiDpT3_, .Lfunc_end46-_ZL19k_bin_bcast_unravelIXadL_ZL6op_addffEE6__halfffJPKfS2_EEvPKT0_PKT1_PT2_15HIP_vector_typeIjLj3EESC_SC_jSC_SC_SC_SC_SC_SC_iiiiiiiiiiiDpT3_
                                        ; -- End function
	.set _ZL19k_bin_bcast_unravelIXadL_ZL6op_addffEE6__halfffJPKfS2_EEvPKT0_PKT1_PT2_15HIP_vector_typeIjLj3EESC_SC_jSC_SC_SC_SC_SC_SC_iiiiiiiiiiiDpT3_.num_vgpr, 11
	.set _ZL19k_bin_bcast_unravelIXadL_ZL6op_addffEE6__halfffJPKfS2_EEvPKT0_PKT1_PT2_15HIP_vector_typeIjLj3EESC_SC_jSC_SC_SC_SC_SC_SC_iiiiiiiiiiiDpT3_.num_agpr, 0
	.set _ZL19k_bin_bcast_unravelIXadL_ZL6op_addffEE6__halfffJPKfS2_EEvPKT0_PKT1_PT2_15HIP_vector_typeIjLj3EESC_SC_jSC_SC_SC_SC_SC_SC_iiiiiiiiiiiDpT3_.numbered_sgpr, 28
	.set _ZL19k_bin_bcast_unravelIXadL_ZL6op_addffEE6__halfffJPKfS2_EEvPKT0_PKT1_PT2_15HIP_vector_typeIjLj3EESC_SC_jSC_SC_SC_SC_SC_SC_iiiiiiiiiiiDpT3_.num_named_barrier, 0
	.set _ZL19k_bin_bcast_unravelIXadL_ZL6op_addffEE6__halfffJPKfS2_EEvPKT0_PKT1_PT2_15HIP_vector_typeIjLj3EESC_SC_jSC_SC_SC_SC_SC_SC_iiiiiiiiiiiDpT3_.private_seg_size, 0
	.set _ZL19k_bin_bcast_unravelIXadL_ZL6op_addffEE6__halfffJPKfS2_EEvPKT0_PKT1_PT2_15HIP_vector_typeIjLj3EESC_SC_jSC_SC_SC_SC_SC_SC_iiiiiiiiiiiDpT3_.uses_vcc, 1
	.set _ZL19k_bin_bcast_unravelIXadL_ZL6op_addffEE6__halfffJPKfS2_EEvPKT0_PKT1_PT2_15HIP_vector_typeIjLj3EESC_SC_jSC_SC_SC_SC_SC_SC_iiiiiiiiiiiDpT3_.uses_flat_scratch, 0
	.set _ZL19k_bin_bcast_unravelIXadL_ZL6op_addffEE6__halfffJPKfS2_EEvPKT0_PKT1_PT2_15HIP_vector_typeIjLj3EESC_SC_jSC_SC_SC_SC_SC_SC_iiiiiiiiiiiDpT3_.has_dyn_sized_stack, 0
	.set _ZL19k_bin_bcast_unravelIXadL_ZL6op_addffEE6__halfffJPKfS2_EEvPKT0_PKT1_PT2_15HIP_vector_typeIjLj3EESC_SC_jSC_SC_SC_SC_SC_SC_iiiiiiiiiiiDpT3_.has_recursion, 0
	.set _ZL19k_bin_bcast_unravelIXadL_ZL6op_addffEE6__halfffJPKfS2_EEvPKT0_PKT1_PT2_15HIP_vector_typeIjLj3EESC_SC_jSC_SC_SC_SC_SC_SC_iiiiiiiiiiiDpT3_.has_indirect_call, 0
	.section	.AMDGPU.csdata,"",@progbits
; Kernel info:
; codeLenInByte = 684
; TotalNumSgprs: 32
; NumVgprs: 11
; ScratchSize: 0
; MemoryBound: 0
; FloatMode: 240
; IeeeMode: 1
; LDSByteSize: 0 bytes/workgroup (compile time only)
; SGPRBlocks: 3
; VGPRBlocks: 2
; NumSGPRsForWavesPerEU: 32
; NumVGPRsForWavesPerEU: 11
; Occupancy: 10
; WaveLimiterHint : 1
; COMPUTE_PGM_RSRC2:SCRATCH_EN: 0
; COMPUTE_PGM_RSRC2:USER_SGPR: 6
; COMPUTE_PGM_RSRC2:TRAP_HANDLER: 0
; COMPUTE_PGM_RSRC2:TGID_X_EN: 1
; COMPUTE_PGM_RSRC2:TGID_Y_EN: 0
; COMPUTE_PGM_RSRC2:TGID_Z_EN: 0
; COMPUTE_PGM_RSRC2:TIDIG_COMP_CNT: 0
	.section	.text._ZL11k_bin_bcastIXadL_ZL6op_addffEE6__halfffJPKfS2_EEvPKT0_PKT1_PT2_iii15HIP_vector_typeIjLj3EESC_SC_SC_SC_iiiiiiiiiiiDpT3_,"axG",@progbits,_ZL11k_bin_bcastIXadL_ZL6op_addffEE6__halfffJPKfS2_EEvPKT0_PKT1_PT2_iii15HIP_vector_typeIjLj3EESC_SC_SC_SC_iiiiiiiiiiiDpT3_,comdat
	.globl	_ZL11k_bin_bcastIXadL_ZL6op_addffEE6__halfffJPKfS2_EEvPKT0_PKT1_PT2_iii15HIP_vector_typeIjLj3EESC_SC_SC_SC_iiiiiiiiiiiDpT3_ ; -- Begin function _ZL11k_bin_bcastIXadL_ZL6op_addffEE6__halfffJPKfS2_EEvPKT0_PKT1_PT2_iii15HIP_vector_typeIjLj3EESC_SC_SC_SC_iiiiiiiiiiiDpT3_
	.p2align	8
	.type	_ZL11k_bin_bcastIXadL_ZL6op_addffEE6__halfffJPKfS2_EEvPKT0_PKT1_PT2_iii15HIP_vector_typeIjLj3EESC_SC_SC_SC_iiiiiiiiiiiDpT3_,@function
_ZL11k_bin_bcastIXadL_ZL6op_addffEE6__halfffJPKfS2_EEvPKT0_PKT1_PT2_iii15HIP_vector_typeIjLj3EESC_SC_SC_SC_iiiiiiiiiiiDpT3_: ; @_ZL11k_bin_bcastIXadL_ZL6op_addffEE6__halfffJPKfS2_EEvPKT0_PKT1_PT2_iii15HIP_vector_typeIjLj3EESC_SC_SC_SC_iiiiiiiiiiiDpT3_
; %bb.0:
	s_load_dwordx2 s[0:1], s[4:5], 0xac
	s_load_dwordx8 s[12:19], s[4:5], 0x18
	s_add_u32 s2, s4, 0xa0
	s_addc_u32 s3, s5, 0
	s_waitcnt lgkmcnt(0)
	s_and_b32 s1, s1, 0xffff
	s_mul_i32 s8, s8, s1
	v_add_u32_e32 v3, s8, v2
	v_mul_hi_u32 v2, v3, s15
	s_lshr_b32 s1, s0, 16
	s_and_b32 s8, s0, 0xffff
	s_mul_i32 s6, s6, s8
	v_add_u32_e32 v2, v3, v2
	v_lshrrev_b32_e32 v2, s16, v2
	v_mul_lo_u32 v4, v2, s17
	s_mul_i32 s7, s7, s1
	v_add_u32_e32 v0, s6, v0
	v_add_u32_e32 v1, s7, v1
	v_cmp_gt_u32_e32 vcc, s12, v0
	v_cmp_gt_u32_e64 s[0:1], s13, v1
	v_sub_u32_e32 v3, v3, v4
	s_and_b64 s[0:1], vcc, s[0:1]
	v_cmp_gt_u32_e32 vcc, s14, v2
	s_and_b64 s[0:1], s[0:1], vcc
	v_cmp_gt_u32_e32 vcc, s17, v3
	s_and_b64 s[0:1], s[0:1], vcc
	s_and_saveexec_b64 s[6:7], s[0:1]
	s_cbranch_execz .LBB47_6
; %bb.1:
	v_cmp_gt_i32_e32 vcc, s12, v0
	s_and_b64 exec, exec, vcc
	s_cbranch_execz .LBB47_6
; %bb.2:
	s_load_dwordx8 s[44:51], s[4:5], 0x3c
	s_load_dwordx8 s[20:27], s[4:5], 0x60
	s_load_dwordx8 s[36:43], s[4:5], 0x80
	s_load_dword s6, s[2:3], 0x0
	s_load_dword s0, s[4:5], 0x5c
	s_waitcnt lgkmcnt(0)
	v_mul_hi_u32 v4, s44, v1
	v_mul_hi_u32 v5, s47, v2
	;; [unrolled: 1-line block ×3, first 2 shown]
	v_mul_lo_u32 v7, v3, s26
	v_add_u32_e32 v4, v1, v4
	v_add_u32_e32 v5, v2, v5
	;; [unrolled: 1-line block ×3, first 2 shown]
	v_lshrrev_b32_e32 v4, s45, v4
	v_lshrrev_b32_e32 v5, s48, v5
	;; [unrolled: 1-line block ×3, first 2 shown]
	v_mul_lo_u32 v4, v4, s46
	v_mul_lo_u32 v5, v5, s49
	v_mul_lo_u32 v6, v6, s0
	v_mul_lo_u32 v8, v2, s25
	v_mul_lo_u32 v9, v1, s24
	v_sub_u32_e32 v4, v1, v4
	v_sub_u32_e32 v5, v2, v5
	;; [unrolled: 1-line block ×3, first 2 shown]
	s_load_dword s9, s[4:5], 0x38
	s_load_dwordx2 s[0:1], s[4:5], 0x0
	s_load_dwordx2 s[2:3], s[4:5], 0x10
	v_mul_lo_u32 v6, v6, s38
	v_mul_lo_u32 v5, v5, s37
	;; [unrolled: 1-line block ×6, first 2 shown]
	v_add3_u32 v1, v8, v9, v7
	v_mov_b32_e32 v2, 0
	v_mov_b32_e32 v8, v2
	v_lshlrev_b64 v[1:2], 1, v[1:2]
	v_add3_u32 v4, v5, v6, v4
	v_add3_u32 v7, v10, v11, v3
	s_waitcnt lgkmcnt(0)
	v_mov_b32_e32 v3, s1
	v_add_co_u32_e32 v5, vcc, s0, v1
	v_addc_co_u32_e32 v6, vcc, v3, v2, vcc
	v_lshlrev_b64 v[1:2], 2, v[7:8]
	v_mov_b32_e32 v3, s3
	v_add_co_u32_e32 v7, vcc, s2, v1
	v_addc_co_u32_e32 v8, vcc, v3, v2, vcc
	s_cmp_lg_u64 s[0:1], 0
	v_mul_lo_u32 v2, s23, v0
	s_cselect_b64 s[0:1], -1, 0
	s_mul_i32 s6, s6, s8
	v_cndmask_b32_e64 v1, 0, 1, s[0:1]
	s_mov_b64 s[4:5], 0
	s_mul_i32 s7, s6, s23
	s_sub_i32 s8, 0, s9
	v_cmp_ne_u32_e64 s[0:1], 1, v1
	v_mov_b32_e32 v9, s41
	v_mov_b32_e32 v10, s43
	s_branch .LBB47_4
.LBB47_3:                               ;   in Loop: Header=BB47_4 Depth=1
	v_mul_hi_u32 v1, s18, v0
	v_add_u32_e32 v2, s7, v2
	v_add_u32_e32 v1, v0, v1
	v_lshrrev_b32_e32 v1, s19, v1
	v_mad_u64_u32 v[11:12], s[2:3], s8, v1, v[0:1]
	v_mul_lo_u32 v1, v11, s27
	v_add_co_u32_e32 v11, vcc, v1, v4
	v_addc_co_u32_e64 v12, s[2:3], 0, 0, vcc
	v_lshlrev_b64 v[11:12], 2, v[11:12]
	v_ashrrev_i32_e32 v1, 31, v0
	v_add_co_u32_e32 v13, vcc, s40, v11
	v_addc_co_u32_e32 v14, vcc, v9, v12, vcc
	v_add_co_u32_e32 v11, vcc, s42, v11
	global_load_dword v13, v[13:14], off
	v_addc_co_u32_e32 v12, vcc, v10, v12, vcc
	global_load_dword v14, v[11:12], off
	v_lshlrev_b64 v[11:12], 2, v[0:1]
	v_add_u32_e32 v0, s6, v0
	v_cmp_le_i32_e32 vcc, s12, v0
	v_add_co_u32_e64 v11, s[2:3], v7, v11
	v_addc_co_u32_e64 v12, s[2:3], v8, v12, s[2:3]
	s_or_b64 s[4:5], vcc, s[4:5]
	s_waitcnt vmcnt(1)
	v_add_f32_e32 v1, v3, v13
	s_waitcnt vmcnt(0)
	v_add_f32_e32 v1, v1, v14
	global_store_dword v[11:12], v1, off
	s_andn2_b64 exec, exec, s[4:5]
	s_cbranch_execz .LBB47_6
.LBB47_4:                               ; =>This Inner Loop Header: Depth=1
	s_and_b64 vcc, exec, s[0:1]
	v_mov_b32_e32 v3, 0
	s_cbranch_vccnz .LBB47_3
; %bb.5:                                ;   in Loop: Header=BB47_4 Depth=1
	v_ashrrev_i32_e32 v3, 31, v2
	v_lshlrev_b64 v[11:12], 1, v[2:3]
	v_add_co_u32_e32 v11, vcc, v5, v11
	v_addc_co_u32_e32 v12, vcc, v6, v12, vcc
	global_load_ushort v1, v[11:12], off
	s_waitcnt vmcnt(0)
	v_cvt_f32_f16_e32 v3, v1
	s_branch .LBB47_3
.LBB47_6:
	s_endpgm
	.section	.rodata,"a",@progbits
	.p2align	6, 0x0
	.amdhsa_kernel _ZL11k_bin_bcastIXadL_ZL6op_addffEE6__halfffJPKfS2_EEvPKT0_PKT1_PT2_iii15HIP_vector_typeIjLj3EESC_SC_SC_SC_iiiiiiiiiiiDpT3_
		.amdhsa_group_segment_fixed_size 0
		.amdhsa_private_segment_fixed_size 0
		.amdhsa_kernarg_size 416
		.amdhsa_user_sgpr_count 6
		.amdhsa_user_sgpr_private_segment_buffer 1
		.amdhsa_user_sgpr_dispatch_ptr 0
		.amdhsa_user_sgpr_queue_ptr 0
		.amdhsa_user_sgpr_kernarg_segment_ptr 1
		.amdhsa_user_sgpr_dispatch_id 0
		.amdhsa_user_sgpr_flat_scratch_init 0
		.amdhsa_user_sgpr_private_segment_size 0
		.amdhsa_uses_dynamic_stack 0
		.amdhsa_system_sgpr_private_segment_wavefront_offset 0
		.amdhsa_system_sgpr_workgroup_id_x 1
		.amdhsa_system_sgpr_workgroup_id_y 1
		.amdhsa_system_sgpr_workgroup_id_z 1
		.amdhsa_system_sgpr_workgroup_info 0
		.amdhsa_system_vgpr_workitem_id 2
		.amdhsa_next_free_vgpr 15
		.amdhsa_next_free_sgpr 52
		.amdhsa_reserve_vcc 1
		.amdhsa_reserve_flat_scratch 0
		.amdhsa_float_round_mode_32 0
		.amdhsa_float_round_mode_16_64 0
		.amdhsa_float_denorm_mode_32 3
		.amdhsa_float_denorm_mode_16_64 3
		.amdhsa_dx10_clamp 1
		.amdhsa_ieee_mode 1
		.amdhsa_fp16_overflow 0
		.amdhsa_exception_fp_ieee_invalid_op 0
		.amdhsa_exception_fp_denorm_src 0
		.amdhsa_exception_fp_ieee_div_zero 0
		.amdhsa_exception_fp_ieee_overflow 0
		.amdhsa_exception_fp_ieee_underflow 0
		.amdhsa_exception_fp_ieee_inexact 0
		.amdhsa_exception_int_div_zero 0
	.end_amdhsa_kernel
	.section	.text._ZL11k_bin_bcastIXadL_ZL6op_addffEE6__halfffJPKfS2_EEvPKT0_PKT1_PT2_iii15HIP_vector_typeIjLj3EESC_SC_SC_SC_iiiiiiiiiiiDpT3_,"axG",@progbits,_ZL11k_bin_bcastIXadL_ZL6op_addffEE6__halfffJPKfS2_EEvPKT0_PKT1_PT2_iii15HIP_vector_typeIjLj3EESC_SC_SC_SC_iiiiiiiiiiiDpT3_,comdat
.Lfunc_end47:
	.size	_ZL11k_bin_bcastIXadL_ZL6op_addffEE6__halfffJPKfS2_EEvPKT0_PKT1_PT2_iii15HIP_vector_typeIjLj3EESC_SC_SC_SC_iiiiiiiiiiiDpT3_, .Lfunc_end47-_ZL11k_bin_bcastIXadL_ZL6op_addffEE6__halfffJPKfS2_EEvPKT0_PKT1_PT2_iii15HIP_vector_typeIjLj3EESC_SC_SC_SC_iiiiiiiiiiiDpT3_
                                        ; -- End function
	.set _ZL11k_bin_bcastIXadL_ZL6op_addffEE6__halfffJPKfS2_EEvPKT0_PKT1_PT2_iii15HIP_vector_typeIjLj3EESC_SC_SC_SC_iiiiiiiiiiiDpT3_.num_vgpr, 15
	.set _ZL11k_bin_bcastIXadL_ZL6op_addffEE6__halfffJPKfS2_EEvPKT0_PKT1_PT2_iii15HIP_vector_typeIjLj3EESC_SC_SC_SC_iiiiiiiiiiiDpT3_.num_agpr, 0
	.set _ZL11k_bin_bcastIXadL_ZL6op_addffEE6__halfffJPKfS2_EEvPKT0_PKT1_PT2_iii15HIP_vector_typeIjLj3EESC_SC_SC_SC_iiiiiiiiiiiDpT3_.numbered_sgpr, 52
	.set _ZL11k_bin_bcastIXadL_ZL6op_addffEE6__halfffJPKfS2_EEvPKT0_PKT1_PT2_iii15HIP_vector_typeIjLj3EESC_SC_SC_SC_iiiiiiiiiiiDpT3_.num_named_barrier, 0
	.set _ZL11k_bin_bcastIXadL_ZL6op_addffEE6__halfffJPKfS2_EEvPKT0_PKT1_PT2_iii15HIP_vector_typeIjLj3EESC_SC_SC_SC_iiiiiiiiiiiDpT3_.private_seg_size, 0
	.set _ZL11k_bin_bcastIXadL_ZL6op_addffEE6__halfffJPKfS2_EEvPKT0_PKT1_PT2_iii15HIP_vector_typeIjLj3EESC_SC_SC_SC_iiiiiiiiiiiDpT3_.uses_vcc, 1
	.set _ZL11k_bin_bcastIXadL_ZL6op_addffEE6__halfffJPKfS2_EEvPKT0_PKT1_PT2_iii15HIP_vector_typeIjLj3EESC_SC_SC_SC_iiiiiiiiiiiDpT3_.uses_flat_scratch, 0
	.set _ZL11k_bin_bcastIXadL_ZL6op_addffEE6__halfffJPKfS2_EEvPKT0_PKT1_PT2_iii15HIP_vector_typeIjLj3EESC_SC_SC_SC_iiiiiiiiiiiDpT3_.has_dyn_sized_stack, 0
	.set _ZL11k_bin_bcastIXadL_ZL6op_addffEE6__halfffJPKfS2_EEvPKT0_PKT1_PT2_iii15HIP_vector_typeIjLj3EESC_SC_SC_SC_iiiiiiiiiiiDpT3_.has_recursion, 0
	.set _ZL11k_bin_bcastIXadL_ZL6op_addffEE6__halfffJPKfS2_EEvPKT0_PKT1_PT2_iii15HIP_vector_typeIjLj3EESC_SC_SC_SC_iiiiiiiiiiiDpT3_.has_indirect_call, 0
	.section	.AMDGPU.csdata,"",@progbits
; Kernel info:
; codeLenInByte = 732
; TotalNumSgprs: 56
; NumVgprs: 15
; ScratchSize: 0
; MemoryBound: 0
; FloatMode: 240
; IeeeMode: 1
; LDSByteSize: 0 bytes/workgroup (compile time only)
; SGPRBlocks: 6
; VGPRBlocks: 3
; NumSGPRsForWavesPerEU: 56
; NumVGPRsForWavesPerEU: 15
; Occupancy: 10
; WaveLimiterHint : 1
; COMPUTE_PGM_RSRC2:SCRATCH_EN: 0
; COMPUTE_PGM_RSRC2:USER_SGPR: 6
; COMPUTE_PGM_RSRC2:TRAP_HANDLER: 0
; COMPUTE_PGM_RSRC2:TGID_X_EN: 1
; COMPUTE_PGM_RSRC2:TGID_Y_EN: 1
; COMPUTE_PGM_RSRC2:TGID_Z_EN: 1
; COMPUTE_PGM_RSRC2:TIDIG_COMP_CNT: 2
	.section	.text._ZL19k_bin_bcast_unravelIXadL_ZL6op_addffEEfffJPKfS1_S1_EEvPKT0_PKT1_PT2_15HIP_vector_typeIjLj3EESB_SB_jSB_SB_SB_SB_SB_SB_iiiiiiiiiiiDpT3_,"axG",@progbits,_ZL19k_bin_bcast_unravelIXadL_ZL6op_addffEEfffJPKfS1_S1_EEvPKT0_PKT1_PT2_15HIP_vector_typeIjLj3EESB_SB_jSB_SB_SB_SB_SB_SB_iiiiiiiiiiiDpT3_,comdat
	.globl	_ZL19k_bin_bcast_unravelIXadL_ZL6op_addffEEfffJPKfS1_S1_EEvPKT0_PKT1_PT2_15HIP_vector_typeIjLj3EESB_SB_jSB_SB_SB_SB_SB_SB_iiiiiiiiiiiDpT3_ ; -- Begin function _ZL19k_bin_bcast_unravelIXadL_ZL6op_addffEEfffJPKfS1_S1_EEvPKT0_PKT1_PT2_15HIP_vector_typeIjLj3EESB_SB_jSB_SB_SB_SB_SB_SB_iiiiiiiiiiiDpT3_
	.p2align	8
	.type	_ZL19k_bin_bcast_unravelIXadL_ZL6op_addffEEfffJPKfS1_S1_EEvPKT0_PKT1_PT2_15HIP_vector_typeIjLj3EESB_SB_jSB_SB_SB_SB_SB_SB_iiiiiiiiiiiDpT3_,@function
_ZL19k_bin_bcast_unravelIXadL_ZL6op_addffEEfffJPKfS1_S1_EEvPKT0_PKT1_PT2_15HIP_vector_typeIjLj3EESB_SB_jSB_SB_SB_SB_SB_SB_iiiiiiiiiiiDpT3_: ; @_ZL19k_bin_bcast_unravelIXadL_ZL6op_addffEEfffJPKfS1_S1_EEvPKT0_PKT1_PT2_15HIP_vector_typeIjLj3EESB_SB_jSB_SB_SB_SB_SB_SB_iiiiiiiiiiiDpT3_
; %bb.0:
	s_load_dword s0, s[4:5], 0xdc
	s_load_dwordx8 s[8:15], s[4:5], 0x38
	s_waitcnt lgkmcnt(0)
	s_and_b32 s0, s0, 0xffff
	s_mul_i32 s6, s6, s0
	v_add_u32_e32 v0, s6, v0
	v_mul_hi_u32 v1, v0, s10
	s_load_dwordx4 s[0:3], s[4:5], 0x18
	s_waitcnt lgkmcnt(0)
	s_load_dword s3, s[4:5], 0x2c
	v_add_u32_e32 v1, v0, v1
	v_lshrrev_b32_e32 v1, s11, v1
	v_mul_lo_u32 v2, v1, s12
	v_sub_u32_e32 v0, v0, v2
	v_mul_hi_u32 v2, v0, s13
	v_add_u32_e32 v2, v0, v2
	v_lshrrev_b32_e32 v3, s14, v2
	v_mul_lo_u32 v2, v3, s15
	v_cmp_gt_u32_e32 vcc, s8, v3
	v_sub_u32_e32 v0, v0, v2
	v_mul_hi_u32 v2, v0, s0
	v_add_u32_e32 v2, v0, v2
	v_lshrrev_b32_e32 v4, s1, v2
	v_mul_lo_u32 v2, v4, s2
	s_waitcnt lgkmcnt(0)
	v_cmp_gt_u32_e64 s[0:1], s3, v4
	v_sub_u32_e32 v0, v0, v2
	v_cmp_gt_u32_e64 s[2:3], s2, v0
	s_and_b64 s[0:1], s[2:3], s[0:1]
	s_and_b64 s[0:1], s[0:1], vcc
	v_cmp_gt_u32_e32 vcc, s9, v1
	s_and_b64 s[0:1], vcc, s[0:1]
	s_and_saveexec_b64 s[2:3], s[0:1]
	s_cbranch_execz .LBB48_4
; %bb.1:
	s_load_dwordx2 s[6:7], s[4:5], 0x0
	s_load_dwordx4 s[0:3], s[4:5], 0xa8
	s_load_dwordx8 s[8:15], s[4:5], 0x88
	s_load_dwordx4 s[24:27], s[4:5], 0x78
	s_load_dwordx8 s[16:23], s[4:5], 0x58
	v_mov_b32_e32 v2, 0
	s_waitcnt lgkmcnt(0)
	s_cmp_eq_u64 s[6:7], 0
	v_mov_b32_e32 v5, 0
	s_cbranch_scc1 .LBB48_3
; %bb.2:
	v_mul_lo_u32 v5, v1, s14
	v_mul_lo_u32 v7, v3, s13
	;; [unrolled: 1-line block ×3, first 2 shown]
	v_mov_b32_e32 v6, 0
	v_mov_b32_e32 v9, s7
	v_add3_u32 v5, v7, v5, v8
	v_lshlrev_b64 v[7:8], 2, v[5:6]
	v_mul_lo_u32 v5, v0, s11
	v_add_co_u32_e32 v7, vcc, s6, v7
	v_addc_co_u32_e32 v8, vcc, v9, v8, vcc
	v_lshlrev_b64 v[5:6], 2, v[5:6]
	v_add_co_u32_e32 v5, vcc, v7, v5
	v_addc_co_u32_e32 v6, vcc, v8, v6, vcc
	global_load_dword v5, v[5:6], off
.LBB48_3:
	v_mul_hi_u32 v6, s19, v4
	v_mul_hi_u32 v7, s22, v3
	;; [unrolled: 1-line block ×4, first 2 shown]
	v_add_u32_e32 v6, v4, v6
	v_add_u32_e32 v7, v3, v7
	;; [unrolled: 1-line block ×3, first 2 shown]
	v_lshrrev_b32_e32 v6, s20, v6
	v_lshrrev_b32_e32 v7, s23, v7
	;; [unrolled: 1-line block ×3, first 2 shown]
	v_mul_lo_u32 v6, v6, s21
	v_mul_lo_u32 v7, v7, s24
	;; [unrolled: 1-line block ×3, first 2 shown]
	v_add_u32_e32 v9, v0, v9
	v_sub_u32_e32 v6, v4, v6
	v_sub_u32_e32 v7, v3, v7
	;; [unrolled: 1-line block ×3, first 2 shown]
	v_lshrrev_b32_e32 v9, s17, v9
	v_mul_lo_u32 v8, v8, s2
	v_mul_lo_u32 v7, v7, s1
	;; [unrolled: 1-line block ×4, first 2 shown]
	s_load_dwordx2 s[6:7], s[4:5], 0xc8
	s_load_dwordx4 s[0:3], s[4:5], 0xb8
	v_mul_lo_u32 v11, v4, s8
	v_add3_u32 v6, v7, v8, v6
	v_sub_u32_e32 v7, v0, v9
	v_mul_lo_u32 v7, v7, s15
	v_ashrrev_i32_e32 v8, 31, v6
	v_ashrrev_i32_e32 v9, 31, v7
	v_add_co_u32_e32 v6, vcc, v7, v6
	v_addc_co_u32_e32 v7, vcc, v9, v8, vcc
	v_lshlrev_b64 v[6:7], 2, v[6:7]
	s_waitcnt lgkmcnt(0)
	v_mov_b32_e32 v9, s1
	v_add_co_u32_e32 v8, vcc, s0, v6
	v_addc_co_u32_e32 v9, vcc, v9, v7, vcc
	global_load_dword v10, v[8:9], off
	v_mov_b32_e32 v9, s3
	v_add_co_u32_e32 v8, vcc, s2, v6
	v_addc_co_u32_e32 v9, vcc, v9, v7, vcc
	global_load_dword v8, v[8:9], off
	;; [unrolled: 4-line block ×3, first 2 shown]
	v_mul_lo_u32 v7, v1, s10
	v_mul_lo_u32 v9, v3, s9
	s_load_dwordx2 s[0:1], s[4:5], 0x10
	v_mov_b32_e32 v1, v2
	v_lshlrev_b64 v[3:4], 2, v[0:1]
	v_add3_u32 v1, v9, v7, v11
	v_lshlrev_b64 v[0:1], 2, v[1:2]
	s_waitcnt lgkmcnt(0)
	v_mov_b32_e32 v2, s1
	v_add_co_u32_e32 v0, vcc, s0, v0
	v_addc_co_u32_e32 v1, vcc, v2, v1, vcc
	v_add_co_u32_e32 v0, vcc, v0, v3
	v_addc_co_u32_e32 v1, vcc, v1, v4, vcc
	s_waitcnt vmcnt(2)
	v_add_f32_e32 v2, v5, v10
	s_waitcnt vmcnt(1)
	v_add_f32_e32 v2, v2, v8
	;; [unrolled: 2-line block ×3, first 2 shown]
	global_store_dword v[0:1], v2, off
.LBB48_4:
	s_endpgm
	.section	.rodata,"a",@progbits
	.p2align	6, 0x0
	.amdhsa_kernel _ZL19k_bin_bcast_unravelIXadL_ZL6op_addffEEfffJPKfS1_S1_EEvPKT0_PKT1_PT2_15HIP_vector_typeIjLj3EESB_SB_jSB_SB_SB_SB_SB_SB_iiiiiiiiiiiDpT3_
		.amdhsa_group_segment_fixed_size 0
		.amdhsa_private_segment_fixed_size 0
		.amdhsa_kernarg_size 464
		.amdhsa_user_sgpr_count 6
		.amdhsa_user_sgpr_private_segment_buffer 1
		.amdhsa_user_sgpr_dispatch_ptr 0
		.amdhsa_user_sgpr_queue_ptr 0
		.amdhsa_user_sgpr_kernarg_segment_ptr 1
		.amdhsa_user_sgpr_dispatch_id 0
		.amdhsa_user_sgpr_flat_scratch_init 0
		.amdhsa_user_sgpr_private_segment_size 0
		.amdhsa_uses_dynamic_stack 0
		.amdhsa_system_sgpr_private_segment_wavefront_offset 0
		.amdhsa_system_sgpr_workgroup_id_x 1
		.amdhsa_system_sgpr_workgroup_id_y 0
		.amdhsa_system_sgpr_workgroup_id_z 0
		.amdhsa_system_sgpr_workgroup_info 0
		.amdhsa_system_vgpr_workitem_id 0
		.amdhsa_next_free_vgpr 12
		.amdhsa_next_free_sgpr 28
		.amdhsa_reserve_vcc 1
		.amdhsa_reserve_flat_scratch 0
		.amdhsa_float_round_mode_32 0
		.amdhsa_float_round_mode_16_64 0
		.amdhsa_float_denorm_mode_32 3
		.amdhsa_float_denorm_mode_16_64 3
		.amdhsa_dx10_clamp 1
		.amdhsa_ieee_mode 1
		.amdhsa_fp16_overflow 0
		.amdhsa_exception_fp_ieee_invalid_op 0
		.amdhsa_exception_fp_denorm_src 0
		.amdhsa_exception_fp_ieee_div_zero 0
		.amdhsa_exception_fp_ieee_overflow 0
		.amdhsa_exception_fp_ieee_underflow 0
		.amdhsa_exception_fp_ieee_inexact 0
		.amdhsa_exception_int_div_zero 0
	.end_amdhsa_kernel
	.section	.text._ZL19k_bin_bcast_unravelIXadL_ZL6op_addffEEfffJPKfS1_S1_EEvPKT0_PKT1_PT2_15HIP_vector_typeIjLj3EESB_SB_jSB_SB_SB_SB_SB_SB_iiiiiiiiiiiDpT3_,"axG",@progbits,_ZL19k_bin_bcast_unravelIXadL_ZL6op_addffEEfffJPKfS1_S1_EEvPKT0_PKT1_PT2_15HIP_vector_typeIjLj3EESB_SB_jSB_SB_SB_SB_SB_SB_iiiiiiiiiiiDpT3_,comdat
.Lfunc_end48:
	.size	_ZL19k_bin_bcast_unravelIXadL_ZL6op_addffEEfffJPKfS1_S1_EEvPKT0_PKT1_PT2_15HIP_vector_typeIjLj3EESB_SB_jSB_SB_SB_SB_SB_SB_iiiiiiiiiiiDpT3_, .Lfunc_end48-_ZL19k_bin_bcast_unravelIXadL_ZL6op_addffEEfffJPKfS1_S1_EEvPKT0_PKT1_PT2_15HIP_vector_typeIjLj3EESB_SB_jSB_SB_SB_SB_SB_SB_iiiiiiiiiiiDpT3_
                                        ; -- End function
	.set _ZL19k_bin_bcast_unravelIXadL_ZL6op_addffEEfffJPKfS1_S1_EEvPKT0_PKT1_PT2_15HIP_vector_typeIjLj3EESB_SB_jSB_SB_SB_SB_SB_SB_iiiiiiiiiiiDpT3_.num_vgpr, 12
	.set _ZL19k_bin_bcast_unravelIXadL_ZL6op_addffEEfffJPKfS1_S1_EEvPKT0_PKT1_PT2_15HIP_vector_typeIjLj3EESB_SB_jSB_SB_SB_SB_SB_SB_iiiiiiiiiiiDpT3_.num_agpr, 0
	.set _ZL19k_bin_bcast_unravelIXadL_ZL6op_addffEEfffJPKfS1_S1_EEvPKT0_PKT1_PT2_15HIP_vector_typeIjLj3EESB_SB_jSB_SB_SB_SB_SB_SB_iiiiiiiiiiiDpT3_.numbered_sgpr, 28
	.set _ZL19k_bin_bcast_unravelIXadL_ZL6op_addffEEfffJPKfS1_S1_EEvPKT0_PKT1_PT2_15HIP_vector_typeIjLj3EESB_SB_jSB_SB_SB_SB_SB_SB_iiiiiiiiiiiDpT3_.num_named_barrier, 0
	.set _ZL19k_bin_bcast_unravelIXadL_ZL6op_addffEEfffJPKfS1_S1_EEvPKT0_PKT1_PT2_15HIP_vector_typeIjLj3EESB_SB_jSB_SB_SB_SB_SB_SB_iiiiiiiiiiiDpT3_.private_seg_size, 0
	.set _ZL19k_bin_bcast_unravelIXadL_ZL6op_addffEEfffJPKfS1_S1_EEvPKT0_PKT1_PT2_15HIP_vector_typeIjLj3EESB_SB_jSB_SB_SB_SB_SB_SB_iiiiiiiiiiiDpT3_.uses_vcc, 1
	.set _ZL19k_bin_bcast_unravelIXadL_ZL6op_addffEEfffJPKfS1_S1_EEvPKT0_PKT1_PT2_15HIP_vector_typeIjLj3EESB_SB_jSB_SB_SB_SB_SB_SB_iiiiiiiiiiiDpT3_.uses_flat_scratch, 0
	.set _ZL19k_bin_bcast_unravelIXadL_ZL6op_addffEEfffJPKfS1_S1_EEvPKT0_PKT1_PT2_15HIP_vector_typeIjLj3EESB_SB_jSB_SB_SB_SB_SB_SB_iiiiiiiiiiiDpT3_.has_dyn_sized_stack, 0
	.set _ZL19k_bin_bcast_unravelIXadL_ZL6op_addffEEfffJPKfS1_S1_EEvPKT0_PKT1_PT2_15HIP_vector_typeIjLj3EESB_SB_jSB_SB_SB_SB_SB_SB_iiiiiiiiiiiDpT3_.has_recursion, 0
	.set _ZL19k_bin_bcast_unravelIXadL_ZL6op_addffEEfffJPKfS1_S1_EEvPKT0_PKT1_PT2_15HIP_vector_typeIjLj3EESB_SB_jSB_SB_SB_SB_SB_SB_iiiiiiiiiiiDpT3_.has_indirect_call, 0
	.section	.AMDGPU.csdata,"",@progbits
; Kernel info:
; codeLenInByte = 712
; TotalNumSgprs: 32
; NumVgprs: 12
; ScratchSize: 0
; MemoryBound: 0
; FloatMode: 240
; IeeeMode: 1
; LDSByteSize: 0 bytes/workgroup (compile time only)
; SGPRBlocks: 3
; VGPRBlocks: 2
; NumSGPRsForWavesPerEU: 32
; NumVGPRsForWavesPerEU: 12
; Occupancy: 10
; WaveLimiterHint : 1
; COMPUTE_PGM_RSRC2:SCRATCH_EN: 0
; COMPUTE_PGM_RSRC2:USER_SGPR: 6
; COMPUTE_PGM_RSRC2:TRAP_HANDLER: 0
; COMPUTE_PGM_RSRC2:TGID_X_EN: 1
; COMPUTE_PGM_RSRC2:TGID_Y_EN: 0
; COMPUTE_PGM_RSRC2:TGID_Z_EN: 0
; COMPUTE_PGM_RSRC2:TIDIG_COMP_CNT: 0
	.section	.text._ZL11k_bin_bcastIXadL_ZL6op_addffEEfffJPKfS1_S1_EEvPKT0_PKT1_PT2_iii15HIP_vector_typeIjLj3EESB_SB_SB_SB_iiiiiiiiiiiDpT3_,"axG",@progbits,_ZL11k_bin_bcastIXadL_ZL6op_addffEEfffJPKfS1_S1_EEvPKT0_PKT1_PT2_iii15HIP_vector_typeIjLj3EESB_SB_SB_SB_iiiiiiiiiiiDpT3_,comdat
	.globl	_ZL11k_bin_bcastIXadL_ZL6op_addffEEfffJPKfS1_S1_EEvPKT0_PKT1_PT2_iii15HIP_vector_typeIjLj3EESB_SB_SB_SB_iiiiiiiiiiiDpT3_ ; -- Begin function _ZL11k_bin_bcastIXadL_ZL6op_addffEEfffJPKfS1_S1_EEvPKT0_PKT1_PT2_iii15HIP_vector_typeIjLj3EESB_SB_SB_SB_iiiiiiiiiiiDpT3_
	.p2align	8
	.type	_ZL11k_bin_bcastIXadL_ZL6op_addffEEfffJPKfS1_S1_EEvPKT0_PKT1_PT2_iii15HIP_vector_typeIjLj3EESB_SB_SB_SB_iiiiiiiiiiiDpT3_,@function
_ZL11k_bin_bcastIXadL_ZL6op_addffEEfffJPKfS1_S1_EEvPKT0_PKT1_PT2_iii15HIP_vector_typeIjLj3EESB_SB_SB_SB_iiiiiiiiiiiDpT3_: ; @_ZL11k_bin_bcastIXadL_ZL6op_addffEEfffJPKfS1_S1_EEvPKT0_PKT1_PT2_iii15HIP_vector_typeIjLj3EESB_SB_SB_SB_iiiiiiiiiiiDpT3_
; %bb.0:
	s_load_dwordx2 s[0:1], s[4:5], 0xb4
	s_load_dwordx8 s[12:19], s[4:5], 0x18
	s_add_u32 s2, s4, 0xa8
	s_addc_u32 s3, s5, 0
	s_waitcnt lgkmcnt(0)
	s_and_b32 s1, s1, 0xffff
	s_mul_i32 s8, s8, s1
	v_add_u32_e32 v3, s8, v2
	v_mul_hi_u32 v2, v3, s15
	s_lshr_b32 s1, s0, 16
	s_and_b32 s8, s0, 0xffff
	s_mul_i32 s6, s6, s8
	v_add_u32_e32 v2, v3, v2
	v_lshrrev_b32_e32 v2, s16, v2
	v_mul_lo_u32 v4, v2, s17
	s_mul_i32 s7, s7, s1
	v_add_u32_e32 v0, s6, v0
	v_add_u32_e32 v1, s7, v1
	v_cmp_gt_u32_e32 vcc, s12, v0
	v_cmp_gt_u32_e64 s[0:1], s13, v1
	v_sub_u32_e32 v3, v3, v4
	s_and_b64 s[0:1], vcc, s[0:1]
	v_cmp_gt_u32_e32 vcc, s14, v2
	s_and_b64 s[0:1], s[0:1], vcc
	v_cmp_gt_u32_e32 vcc, s17, v3
	s_and_b64 s[0:1], s[0:1], vcc
	s_and_saveexec_b64 s[6:7], s[0:1]
	s_cbranch_execz .LBB49_6
; %bb.1:
	v_cmp_gt_i32_e32 vcc, s12, v0
	s_and_b64 exec, exec, vcc
	s_cbranch_execz .LBB49_6
; %bb.2:
	s_load_dwordx8 s[44:51], s[4:5], 0x3c
	s_load_dwordx8 s[20:27], s[4:5], 0x60
	;; [unrolled: 1-line block ×3, first 2 shown]
	s_load_dword s9, s[2:3], 0x0
	s_load_dword s0, s[4:5], 0x5c
	s_waitcnt lgkmcnt(0)
	v_mul_hi_u32 v4, s44, v1
	v_mul_hi_u32 v5, s47, v2
	;; [unrolled: 1-line block ×3, first 2 shown]
	v_mul_lo_u32 v7, v3, s26
	v_add_u32_e32 v4, v1, v4
	v_add_u32_e32 v5, v2, v5
	;; [unrolled: 1-line block ×3, first 2 shown]
	v_lshrrev_b32_e32 v4, s45, v4
	v_lshrrev_b32_e32 v5, s48, v5
	;; [unrolled: 1-line block ×3, first 2 shown]
	v_mul_lo_u32 v4, v4, s46
	v_mul_lo_u32 v5, v5, s49
	v_mul_lo_u32 v6, v6, s0
	v_mul_lo_u32 v8, v2, s25
	v_mul_lo_u32 v9, v1, s24
	v_sub_u32_e32 v4, v1, v4
	v_sub_u32_e32 v5, v2, v5
	;; [unrolled: 1-line block ×3, first 2 shown]
	s_load_dword s10, s[4:5], 0x38
	s_load_dwordx2 s[0:1], s[4:5], 0x0
	s_load_dwordx2 s[2:3], s[4:5], 0x10
	v_mul_lo_u32 v6, v6, s38
	v_mul_lo_u32 v5, v5, s37
	;; [unrolled: 1-line block ×6, first 2 shown]
	v_add3_u32 v1, v8, v9, v7
	v_mov_b32_e32 v2, 0
	v_mov_b32_e32 v8, v2
	v_lshlrev_b64 v[1:2], 2, v[1:2]
	v_add3_u32 v4, v5, v6, v4
	v_add3_u32 v7, v10, v11, v3
	s_waitcnt lgkmcnt(0)
	v_mov_b32_e32 v3, s1
	v_add_co_u32_e32 v5, vcc, s0, v1
	v_addc_co_u32_e32 v6, vcc, v3, v2, vcc
	v_lshlrev_b64 v[1:2], 2, v[7:8]
	s_load_dwordx2 s[4:5], s[4:5], 0xa0
	v_mov_b32_e32 v3, s3
	v_add_co_u32_e32 v7, vcc, s2, v1
	v_addc_co_u32_e32 v8, vcc, v3, v2, vcc
	s_cmp_lg_u64 s[0:1], 0
	v_mul_lo_u32 v2, s23, v0
	s_cselect_b64 s[0:1], -1, 0
	s_mul_i32 s8, s9, s8
	v_cndmask_b32_e64 v1, 0, 1, s[0:1]
	s_mov_b64 s[6:7], 0
	s_mul_i32 s9, s8, s23
	s_sub_i32 s10, 0, s10
	v_cmp_ne_u32_e64 s[0:1], 1, v1
	v_mov_b32_e32 v9, s41
	v_mov_b32_e32 v10, s43
	s_waitcnt lgkmcnt(0)
	v_mov_b32_e32 v11, s5
	s_branch .LBB49_4
.LBB49_3:                               ;   in Loop: Header=BB49_4 Depth=1
	v_mul_hi_u32 v1, s18, v0
	v_add_u32_e32 v2, s9, v2
	v_add_u32_e32 v1, v0, v1
	v_lshrrev_b32_e32 v1, s19, v1
	v_mad_u64_u32 v[12:13], s[2:3], s10, v1, v[0:1]
	v_mul_lo_u32 v1, v12, s27
	v_add_co_u32_e32 v12, vcc, v1, v4
	v_addc_co_u32_e64 v13, s[2:3], 0, 0, vcc
	v_lshlrev_b64 v[12:13], 2, v[12:13]
	v_ashrrev_i32_e32 v1, 31, v0
	v_add_co_u32_e32 v14, vcc, s40, v12
	v_addc_co_u32_e32 v15, vcc, v9, v13, vcc
	global_load_dword v16, v[14:15], off
	v_add_co_u32_e32 v14, vcc, s42, v12
	v_addc_co_u32_e32 v15, vcc, v10, v13, vcc
	v_add_co_u32_e32 v12, vcc, s4, v12
	global_load_dword v14, v[14:15], off
	v_addc_co_u32_e32 v13, vcc, v11, v13, vcc
	global_load_dword v15, v[12:13], off
	v_lshlrev_b64 v[12:13], 2, v[0:1]
	v_add_u32_e32 v0, s8, v0
	v_cmp_le_i32_e32 vcc, s12, v0
	v_add_co_u32_e64 v12, s[2:3], v7, v12
	v_addc_co_u32_e64 v13, s[2:3], v8, v13, s[2:3]
	s_or_b64 s[6:7], vcc, s[6:7]
	s_waitcnt vmcnt(2)
	v_add_f32_e32 v1, v3, v16
	s_waitcnt vmcnt(1)
	v_add_f32_e32 v1, v1, v14
	;; [unrolled: 2-line block ×3, first 2 shown]
	global_store_dword v[12:13], v1, off
	s_andn2_b64 exec, exec, s[6:7]
	s_cbranch_execz .LBB49_6
.LBB49_4:                               ; =>This Inner Loop Header: Depth=1
	s_and_b64 vcc, exec, s[0:1]
	v_mov_b32_e32 v3, 0
	s_cbranch_vccnz .LBB49_3
; %bb.5:                                ;   in Loop: Header=BB49_4 Depth=1
	v_ashrrev_i32_e32 v3, 31, v2
	v_lshlrev_b64 v[12:13], 2, v[2:3]
	v_add_co_u32_e32 v12, vcc, v5, v12
	v_addc_co_u32_e32 v13, vcc, v6, v13, vcc
	global_load_dword v3, v[12:13], off
	s_branch .LBB49_3
.LBB49_6:
	s_endpgm
	.section	.rodata,"a",@progbits
	.p2align	6, 0x0
	.amdhsa_kernel _ZL11k_bin_bcastIXadL_ZL6op_addffEEfffJPKfS1_S1_EEvPKT0_PKT1_PT2_iii15HIP_vector_typeIjLj3EESB_SB_SB_SB_iiiiiiiiiiiDpT3_
		.amdhsa_group_segment_fixed_size 0
		.amdhsa_private_segment_fixed_size 0
		.amdhsa_kernarg_size 424
		.amdhsa_user_sgpr_count 6
		.amdhsa_user_sgpr_private_segment_buffer 1
		.amdhsa_user_sgpr_dispatch_ptr 0
		.amdhsa_user_sgpr_queue_ptr 0
		.amdhsa_user_sgpr_kernarg_segment_ptr 1
		.amdhsa_user_sgpr_dispatch_id 0
		.amdhsa_user_sgpr_flat_scratch_init 0
		.amdhsa_user_sgpr_private_segment_size 0
		.amdhsa_uses_dynamic_stack 0
		.amdhsa_system_sgpr_private_segment_wavefront_offset 0
		.amdhsa_system_sgpr_workgroup_id_x 1
		.amdhsa_system_sgpr_workgroup_id_y 1
		.amdhsa_system_sgpr_workgroup_id_z 1
		.amdhsa_system_sgpr_workgroup_info 0
		.amdhsa_system_vgpr_workitem_id 2
		.amdhsa_next_free_vgpr 17
		.amdhsa_next_free_sgpr 52
		.amdhsa_reserve_vcc 1
		.amdhsa_reserve_flat_scratch 0
		.amdhsa_float_round_mode_32 0
		.amdhsa_float_round_mode_16_64 0
		.amdhsa_float_denorm_mode_32 3
		.amdhsa_float_denorm_mode_16_64 3
		.amdhsa_dx10_clamp 1
		.amdhsa_ieee_mode 1
		.amdhsa_fp16_overflow 0
		.amdhsa_exception_fp_ieee_invalid_op 0
		.amdhsa_exception_fp_denorm_src 0
		.amdhsa_exception_fp_ieee_div_zero 0
		.amdhsa_exception_fp_ieee_overflow 0
		.amdhsa_exception_fp_ieee_underflow 0
		.amdhsa_exception_fp_ieee_inexact 0
		.amdhsa_exception_int_div_zero 0
	.end_amdhsa_kernel
	.section	.text._ZL11k_bin_bcastIXadL_ZL6op_addffEEfffJPKfS1_S1_EEvPKT0_PKT1_PT2_iii15HIP_vector_typeIjLj3EESB_SB_SB_SB_iiiiiiiiiiiDpT3_,"axG",@progbits,_ZL11k_bin_bcastIXadL_ZL6op_addffEEfffJPKfS1_S1_EEvPKT0_PKT1_PT2_iii15HIP_vector_typeIjLj3EESB_SB_SB_SB_iiiiiiiiiiiDpT3_,comdat
.Lfunc_end49:
	.size	_ZL11k_bin_bcastIXadL_ZL6op_addffEEfffJPKfS1_S1_EEvPKT0_PKT1_PT2_iii15HIP_vector_typeIjLj3EESB_SB_SB_SB_iiiiiiiiiiiDpT3_, .Lfunc_end49-_ZL11k_bin_bcastIXadL_ZL6op_addffEEfffJPKfS1_S1_EEvPKT0_PKT1_PT2_iii15HIP_vector_typeIjLj3EESB_SB_SB_SB_iiiiiiiiiiiDpT3_
                                        ; -- End function
	.set _ZL11k_bin_bcastIXadL_ZL6op_addffEEfffJPKfS1_S1_EEvPKT0_PKT1_PT2_iii15HIP_vector_typeIjLj3EESB_SB_SB_SB_iiiiiiiiiiiDpT3_.num_vgpr, 17
	.set _ZL11k_bin_bcastIXadL_ZL6op_addffEEfffJPKfS1_S1_EEvPKT0_PKT1_PT2_iii15HIP_vector_typeIjLj3EESB_SB_SB_SB_iiiiiiiiiiiDpT3_.num_agpr, 0
	.set _ZL11k_bin_bcastIXadL_ZL6op_addffEEfffJPKfS1_S1_EEvPKT0_PKT1_PT2_iii15HIP_vector_typeIjLj3EESB_SB_SB_SB_iiiiiiiiiiiDpT3_.numbered_sgpr, 52
	.set _ZL11k_bin_bcastIXadL_ZL6op_addffEEfffJPKfS1_S1_EEvPKT0_PKT1_PT2_iii15HIP_vector_typeIjLj3EESB_SB_SB_SB_iiiiiiiiiiiDpT3_.num_named_barrier, 0
	.set _ZL11k_bin_bcastIXadL_ZL6op_addffEEfffJPKfS1_S1_EEvPKT0_PKT1_PT2_iii15HIP_vector_typeIjLj3EESB_SB_SB_SB_iiiiiiiiiiiDpT3_.private_seg_size, 0
	.set _ZL11k_bin_bcastIXadL_ZL6op_addffEEfffJPKfS1_S1_EEvPKT0_PKT1_PT2_iii15HIP_vector_typeIjLj3EESB_SB_SB_SB_iiiiiiiiiiiDpT3_.uses_vcc, 1
	.set _ZL11k_bin_bcastIXadL_ZL6op_addffEEfffJPKfS1_S1_EEvPKT0_PKT1_PT2_iii15HIP_vector_typeIjLj3EESB_SB_SB_SB_iiiiiiiiiiiDpT3_.uses_flat_scratch, 0
	.set _ZL11k_bin_bcastIXadL_ZL6op_addffEEfffJPKfS1_S1_EEvPKT0_PKT1_PT2_iii15HIP_vector_typeIjLj3EESB_SB_SB_SB_iiiiiiiiiiiDpT3_.has_dyn_sized_stack, 0
	.set _ZL11k_bin_bcastIXadL_ZL6op_addffEEfffJPKfS1_S1_EEvPKT0_PKT1_PT2_iii15HIP_vector_typeIjLj3EESB_SB_SB_SB_iiiiiiiiiiiDpT3_.has_recursion, 0
	.set _ZL11k_bin_bcastIXadL_ZL6op_addffEEfffJPKfS1_S1_EEvPKT0_PKT1_PT2_iii15HIP_vector_typeIjLj3EESB_SB_SB_SB_iiiiiiiiiiiDpT3_.has_indirect_call, 0
	.section	.AMDGPU.csdata,"",@progbits
; Kernel info:
; codeLenInByte = 764
; TotalNumSgprs: 56
; NumVgprs: 17
; ScratchSize: 0
; MemoryBound: 0
; FloatMode: 240
; IeeeMode: 1
; LDSByteSize: 0 bytes/workgroup (compile time only)
; SGPRBlocks: 6
; VGPRBlocks: 4
; NumSGPRsForWavesPerEU: 56
; NumVGPRsForWavesPerEU: 17
; Occupancy: 10
; WaveLimiterHint : 1
; COMPUTE_PGM_RSRC2:SCRATCH_EN: 0
; COMPUTE_PGM_RSRC2:USER_SGPR: 6
; COMPUTE_PGM_RSRC2:TRAP_HANDLER: 0
; COMPUTE_PGM_RSRC2:TGID_X_EN: 1
; COMPUTE_PGM_RSRC2:TGID_Y_EN: 1
; COMPUTE_PGM_RSRC2:TGID_Z_EN: 1
; COMPUTE_PGM_RSRC2:TIDIG_COMP_CNT: 2
	.section	.text._ZL19k_bin_bcast_unravelIXadL_ZL6op_addffEE6__halfS0_S0_JPKS0_S2_S2_EEvPKT0_PKT1_PT2_15HIP_vector_typeIjLj3EESC_SC_jSC_SC_SC_SC_SC_SC_iiiiiiiiiiiDpT3_,"axG",@progbits,_ZL19k_bin_bcast_unravelIXadL_ZL6op_addffEE6__halfS0_S0_JPKS0_S2_S2_EEvPKT0_PKT1_PT2_15HIP_vector_typeIjLj3EESC_SC_jSC_SC_SC_SC_SC_SC_iiiiiiiiiiiDpT3_,comdat
	.globl	_ZL19k_bin_bcast_unravelIXadL_ZL6op_addffEE6__halfS0_S0_JPKS0_S2_S2_EEvPKT0_PKT1_PT2_15HIP_vector_typeIjLj3EESC_SC_jSC_SC_SC_SC_SC_SC_iiiiiiiiiiiDpT3_ ; -- Begin function _ZL19k_bin_bcast_unravelIXadL_ZL6op_addffEE6__halfS0_S0_JPKS0_S2_S2_EEvPKT0_PKT1_PT2_15HIP_vector_typeIjLj3EESC_SC_jSC_SC_SC_SC_SC_SC_iiiiiiiiiiiDpT3_
	.p2align	8
	.type	_ZL19k_bin_bcast_unravelIXadL_ZL6op_addffEE6__halfS0_S0_JPKS0_S2_S2_EEvPKT0_PKT1_PT2_15HIP_vector_typeIjLj3EESC_SC_jSC_SC_SC_SC_SC_SC_iiiiiiiiiiiDpT3_,@function
_ZL19k_bin_bcast_unravelIXadL_ZL6op_addffEE6__halfS0_S0_JPKS0_S2_S2_EEvPKT0_PKT1_PT2_15HIP_vector_typeIjLj3EESC_SC_jSC_SC_SC_SC_SC_SC_iiiiiiiiiiiDpT3_: ; @_ZL19k_bin_bcast_unravelIXadL_ZL6op_addffEE6__halfS0_S0_JPKS0_S2_S2_EEvPKT0_PKT1_PT2_15HIP_vector_typeIjLj3EESC_SC_jSC_SC_SC_SC_SC_SC_iiiiiiiiiiiDpT3_
; %bb.0:
	s_load_dword s0, s[4:5], 0xdc
	s_load_dwordx8 s[8:15], s[4:5], 0x38
	s_waitcnt lgkmcnt(0)
	s_and_b32 s0, s0, 0xffff
	s_mul_i32 s6, s6, s0
	v_add_u32_e32 v0, s6, v0
	v_mul_hi_u32 v1, v0, s10
	s_load_dwordx4 s[0:3], s[4:5], 0x18
	s_waitcnt lgkmcnt(0)
	s_load_dword s3, s[4:5], 0x2c
	v_add_u32_e32 v1, v0, v1
	v_lshrrev_b32_e32 v1, s11, v1
	v_mul_lo_u32 v2, v1, s12
	v_sub_u32_e32 v0, v0, v2
	v_mul_hi_u32 v2, v0, s13
	v_add_u32_e32 v2, v0, v2
	v_lshrrev_b32_e32 v3, s14, v2
	v_mul_lo_u32 v2, v3, s15
	v_cmp_gt_u32_e32 vcc, s8, v3
	v_sub_u32_e32 v0, v0, v2
	v_mul_hi_u32 v2, v0, s0
	v_add_u32_e32 v2, v0, v2
	v_lshrrev_b32_e32 v4, s1, v2
	v_mul_lo_u32 v2, v4, s2
	s_waitcnt lgkmcnt(0)
	v_cmp_gt_u32_e64 s[0:1], s3, v4
	v_sub_u32_e32 v0, v0, v2
	v_cmp_gt_u32_e64 s[2:3], s2, v0
	s_and_b64 s[0:1], s[2:3], s[0:1]
	s_and_b64 s[0:1], s[0:1], vcc
	v_cmp_gt_u32_e32 vcc, s9, v1
	s_and_b64 s[0:1], vcc, s[0:1]
	s_and_saveexec_b64 s[2:3], s[0:1]
	s_cbranch_execz .LBB50_4
; %bb.1:
	s_load_dwordx2 s[6:7], s[4:5], 0x0
	s_load_dwordx4 s[0:3], s[4:5], 0xa8
	s_load_dwordx8 s[8:15], s[4:5], 0x88
	s_load_dwordx4 s[24:27], s[4:5], 0x78
	s_load_dwordx8 s[16:23], s[4:5], 0x58
	v_mov_b32_e32 v2, 0
	s_waitcnt lgkmcnt(0)
	s_cmp_eq_u64 s[6:7], 0
	v_mov_b32_e32 v5, 0
	s_cbranch_scc1 .LBB50_3
; %bb.2:
	v_mul_lo_u32 v5, v1, s14
	v_mul_lo_u32 v7, v3, s13
	v_mul_lo_u32 v8, v4, s12
	v_mov_b32_e32 v6, 0
	v_mov_b32_e32 v9, s7
	v_add3_u32 v5, v7, v5, v8
	v_lshlrev_b64 v[7:8], 1, v[5:6]
	v_mul_lo_u32 v5, v0, s11
	v_add_co_u32_e32 v7, vcc, s6, v7
	v_addc_co_u32_e32 v8, vcc, v9, v8, vcc
	v_lshlrev_b64 v[5:6], 1, v[5:6]
	v_add_co_u32_e32 v5, vcc, v7, v5
	v_addc_co_u32_e32 v6, vcc, v8, v6, vcc
	global_load_ushort v5, v[5:6], off
	s_waitcnt vmcnt(0)
	v_cvt_f32_f16_e32 v5, v5
.LBB50_3:
	v_mul_hi_u32 v6, s19, v4
	v_mul_hi_u32 v7, s22, v3
	;; [unrolled: 1-line block ×4, first 2 shown]
	v_add_u32_e32 v6, v4, v6
	v_add_u32_e32 v7, v3, v7
	;; [unrolled: 1-line block ×3, first 2 shown]
	v_lshrrev_b32_e32 v6, s20, v6
	v_lshrrev_b32_e32 v7, s23, v7
	v_lshrrev_b32_e32 v8, s26, v8
	v_mul_lo_u32 v6, v6, s21
	v_mul_lo_u32 v7, v7, s24
	;; [unrolled: 1-line block ×3, first 2 shown]
	v_add_u32_e32 v9, v0, v9
	v_sub_u32_e32 v6, v4, v6
	v_sub_u32_e32 v7, v3, v7
	;; [unrolled: 1-line block ×3, first 2 shown]
	v_lshrrev_b32_e32 v9, s17, v9
	v_mul_lo_u32 v8, v8, s2
	v_mul_lo_u32 v7, v7, s1
	;; [unrolled: 1-line block ×4, first 2 shown]
	s_load_dwordx2 s[6:7], s[4:5], 0xc8
	s_load_dwordx4 s[0:3], s[4:5], 0xb8
	v_mul_lo_u32 v11, v4, s8
	v_add3_u32 v6, v7, v8, v6
	v_sub_u32_e32 v7, v0, v9
	v_mul_lo_u32 v7, v7, s15
	v_ashrrev_i32_e32 v8, 31, v6
	v_ashrrev_i32_e32 v9, 31, v7
	v_add_co_u32_e32 v6, vcc, v7, v6
	v_addc_co_u32_e32 v7, vcc, v9, v8, vcc
	v_lshlrev_b64 v[6:7], 1, v[6:7]
	s_waitcnt lgkmcnt(0)
	v_mov_b32_e32 v9, s1
	v_add_co_u32_e32 v8, vcc, s0, v6
	v_addc_co_u32_e32 v9, vcc, v9, v7, vcc
	global_load_ushort v10, v[8:9], off
	v_mov_b32_e32 v9, s3
	v_add_co_u32_e32 v8, vcc, s2, v6
	v_addc_co_u32_e32 v9, vcc, v9, v7, vcc
	global_load_ushort v8, v[8:9], off
	;; [unrolled: 4-line block ×3, first 2 shown]
	v_mul_lo_u32 v7, v1, s10
	v_mul_lo_u32 v9, v3, s9
	s_load_dwordx2 s[0:1], s[4:5], 0x10
	v_mov_b32_e32 v1, v2
	v_lshlrev_b64 v[3:4], 1, v[0:1]
	v_add3_u32 v1, v9, v7, v11
	v_lshlrev_b64 v[0:1], 1, v[1:2]
	s_waitcnt lgkmcnt(0)
	v_mov_b32_e32 v2, s1
	v_add_co_u32_e32 v0, vcc, s0, v0
	v_addc_co_u32_e32 v1, vcc, v2, v1, vcc
	v_add_co_u32_e32 v0, vcc, v0, v3
	v_addc_co_u32_e32 v1, vcc, v1, v4, vcc
	s_waitcnt vmcnt(2)
	v_cvt_f32_f16_e32 v7, v10
	v_add_f32_e32 v2, v5, v7
	s_waitcnt vmcnt(1)
	v_cvt_f32_f16_e32 v8, v8
	v_add_f32_e32 v2, v2, v8
	;; [unrolled: 3-line block ×3, first 2 shown]
	v_cvt_f16_f32_e32 v2, v2
	global_store_short v[0:1], v2, off
.LBB50_4:
	s_endpgm
	.section	.rodata,"a",@progbits
	.p2align	6, 0x0
	.amdhsa_kernel _ZL19k_bin_bcast_unravelIXadL_ZL6op_addffEE6__halfS0_S0_JPKS0_S2_S2_EEvPKT0_PKT1_PT2_15HIP_vector_typeIjLj3EESC_SC_jSC_SC_SC_SC_SC_SC_iiiiiiiiiiiDpT3_
		.amdhsa_group_segment_fixed_size 0
		.amdhsa_private_segment_fixed_size 0
		.amdhsa_kernarg_size 464
		.amdhsa_user_sgpr_count 6
		.amdhsa_user_sgpr_private_segment_buffer 1
		.amdhsa_user_sgpr_dispatch_ptr 0
		.amdhsa_user_sgpr_queue_ptr 0
		.amdhsa_user_sgpr_kernarg_segment_ptr 1
		.amdhsa_user_sgpr_dispatch_id 0
		.amdhsa_user_sgpr_flat_scratch_init 0
		.amdhsa_user_sgpr_private_segment_size 0
		.amdhsa_uses_dynamic_stack 0
		.amdhsa_system_sgpr_private_segment_wavefront_offset 0
		.amdhsa_system_sgpr_workgroup_id_x 1
		.amdhsa_system_sgpr_workgroup_id_y 0
		.amdhsa_system_sgpr_workgroup_id_z 0
		.amdhsa_system_sgpr_workgroup_info 0
		.amdhsa_system_vgpr_workitem_id 0
		.amdhsa_next_free_vgpr 12
		.amdhsa_next_free_sgpr 28
		.amdhsa_reserve_vcc 1
		.amdhsa_reserve_flat_scratch 0
		.amdhsa_float_round_mode_32 0
		.amdhsa_float_round_mode_16_64 0
		.amdhsa_float_denorm_mode_32 3
		.amdhsa_float_denorm_mode_16_64 3
		.amdhsa_dx10_clamp 1
		.amdhsa_ieee_mode 1
		.amdhsa_fp16_overflow 0
		.amdhsa_exception_fp_ieee_invalid_op 0
		.amdhsa_exception_fp_denorm_src 0
		.amdhsa_exception_fp_ieee_div_zero 0
		.amdhsa_exception_fp_ieee_overflow 0
		.amdhsa_exception_fp_ieee_underflow 0
		.amdhsa_exception_fp_ieee_inexact 0
		.amdhsa_exception_int_div_zero 0
	.end_amdhsa_kernel
	.section	.text._ZL19k_bin_bcast_unravelIXadL_ZL6op_addffEE6__halfS0_S0_JPKS0_S2_S2_EEvPKT0_PKT1_PT2_15HIP_vector_typeIjLj3EESC_SC_jSC_SC_SC_SC_SC_SC_iiiiiiiiiiiDpT3_,"axG",@progbits,_ZL19k_bin_bcast_unravelIXadL_ZL6op_addffEE6__halfS0_S0_JPKS0_S2_S2_EEvPKT0_PKT1_PT2_15HIP_vector_typeIjLj3EESC_SC_jSC_SC_SC_SC_SC_SC_iiiiiiiiiiiDpT3_,comdat
.Lfunc_end50:
	.size	_ZL19k_bin_bcast_unravelIXadL_ZL6op_addffEE6__halfS0_S0_JPKS0_S2_S2_EEvPKT0_PKT1_PT2_15HIP_vector_typeIjLj3EESC_SC_jSC_SC_SC_SC_SC_SC_iiiiiiiiiiiDpT3_, .Lfunc_end50-_ZL19k_bin_bcast_unravelIXadL_ZL6op_addffEE6__halfS0_S0_JPKS0_S2_S2_EEvPKT0_PKT1_PT2_15HIP_vector_typeIjLj3EESC_SC_jSC_SC_SC_SC_SC_SC_iiiiiiiiiiiDpT3_
                                        ; -- End function
	.set _ZL19k_bin_bcast_unravelIXadL_ZL6op_addffEE6__halfS0_S0_JPKS0_S2_S2_EEvPKT0_PKT1_PT2_15HIP_vector_typeIjLj3EESC_SC_jSC_SC_SC_SC_SC_SC_iiiiiiiiiiiDpT3_.num_vgpr, 12
	.set _ZL19k_bin_bcast_unravelIXadL_ZL6op_addffEE6__halfS0_S0_JPKS0_S2_S2_EEvPKT0_PKT1_PT2_15HIP_vector_typeIjLj3EESC_SC_jSC_SC_SC_SC_SC_SC_iiiiiiiiiiiDpT3_.num_agpr, 0
	.set _ZL19k_bin_bcast_unravelIXadL_ZL6op_addffEE6__halfS0_S0_JPKS0_S2_S2_EEvPKT0_PKT1_PT2_15HIP_vector_typeIjLj3EESC_SC_jSC_SC_SC_SC_SC_SC_iiiiiiiiiiiDpT3_.numbered_sgpr, 28
	.set _ZL19k_bin_bcast_unravelIXadL_ZL6op_addffEE6__halfS0_S0_JPKS0_S2_S2_EEvPKT0_PKT1_PT2_15HIP_vector_typeIjLj3EESC_SC_jSC_SC_SC_SC_SC_SC_iiiiiiiiiiiDpT3_.num_named_barrier, 0
	.set _ZL19k_bin_bcast_unravelIXadL_ZL6op_addffEE6__halfS0_S0_JPKS0_S2_S2_EEvPKT0_PKT1_PT2_15HIP_vector_typeIjLj3EESC_SC_jSC_SC_SC_SC_SC_SC_iiiiiiiiiiiDpT3_.private_seg_size, 0
	.set _ZL19k_bin_bcast_unravelIXadL_ZL6op_addffEE6__halfS0_S0_JPKS0_S2_S2_EEvPKT0_PKT1_PT2_15HIP_vector_typeIjLj3EESC_SC_jSC_SC_SC_SC_SC_SC_iiiiiiiiiiiDpT3_.uses_vcc, 1
	.set _ZL19k_bin_bcast_unravelIXadL_ZL6op_addffEE6__halfS0_S0_JPKS0_S2_S2_EEvPKT0_PKT1_PT2_15HIP_vector_typeIjLj3EESC_SC_jSC_SC_SC_SC_SC_SC_iiiiiiiiiiiDpT3_.uses_flat_scratch, 0
	.set _ZL19k_bin_bcast_unravelIXadL_ZL6op_addffEE6__halfS0_S0_JPKS0_S2_S2_EEvPKT0_PKT1_PT2_15HIP_vector_typeIjLj3EESC_SC_jSC_SC_SC_SC_SC_SC_iiiiiiiiiiiDpT3_.has_dyn_sized_stack, 0
	.set _ZL19k_bin_bcast_unravelIXadL_ZL6op_addffEE6__halfS0_S0_JPKS0_S2_S2_EEvPKT0_PKT1_PT2_15HIP_vector_typeIjLj3EESC_SC_jSC_SC_SC_SC_SC_SC_iiiiiiiiiiiDpT3_.has_recursion, 0
	.set _ZL19k_bin_bcast_unravelIXadL_ZL6op_addffEE6__halfS0_S0_JPKS0_S2_S2_EEvPKT0_PKT1_PT2_15HIP_vector_typeIjLj3EESC_SC_jSC_SC_SC_SC_SC_SC_iiiiiiiiiiiDpT3_.has_indirect_call, 0
	.section	.AMDGPU.csdata,"",@progbits
; Kernel info:
; codeLenInByte = 736
; TotalNumSgprs: 32
; NumVgprs: 12
; ScratchSize: 0
; MemoryBound: 0
; FloatMode: 240
; IeeeMode: 1
; LDSByteSize: 0 bytes/workgroup (compile time only)
; SGPRBlocks: 3
; VGPRBlocks: 2
; NumSGPRsForWavesPerEU: 32
; NumVGPRsForWavesPerEU: 12
; Occupancy: 10
; WaveLimiterHint : 1
; COMPUTE_PGM_RSRC2:SCRATCH_EN: 0
; COMPUTE_PGM_RSRC2:USER_SGPR: 6
; COMPUTE_PGM_RSRC2:TRAP_HANDLER: 0
; COMPUTE_PGM_RSRC2:TGID_X_EN: 1
; COMPUTE_PGM_RSRC2:TGID_Y_EN: 0
; COMPUTE_PGM_RSRC2:TGID_Z_EN: 0
; COMPUTE_PGM_RSRC2:TIDIG_COMP_CNT: 0
	.section	.text._ZL11k_bin_bcastIXadL_ZL6op_addffEE6__halfS0_S0_JPKS0_S2_S2_EEvPKT0_PKT1_PT2_iii15HIP_vector_typeIjLj3EESC_SC_SC_SC_iiiiiiiiiiiDpT3_,"axG",@progbits,_ZL11k_bin_bcastIXadL_ZL6op_addffEE6__halfS0_S0_JPKS0_S2_S2_EEvPKT0_PKT1_PT2_iii15HIP_vector_typeIjLj3EESC_SC_SC_SC_iiiiiiiiiiiDpT3_,comdat
	.globl	_ZL11k_bin_bcastIXadL_ZL6op_addffEE6__halfS0_S0_JPKS0_S2_S2_EEvPKT0_PKT1_PT2_iii15HIP_vector_typeIjLj3EESC_SC_SC_SC_iiiiiiiiiiiDpT3_ ; -- Begin function _ZL11k_bin_bcastIXadL_ZL6op_addffEE6__halfS0_S0_JPKS0_S2_S2_EEvPKT0_PKT1_PT2_iii15HIP_vector_typeIjLj3EESC_SC_SC_SC_iiiiiiiiiiiDpT3_
	.p2align	8
	.type	_ZL11k_bin_bcastIXadL_ZL6op_addffEE6__halfS0_S0_JPKS0_S2_S2_EEvPKT0_PKT1_PT2_iii15HIP_vector_typeIjLj3EESC_SC_SC_SC_iiiiiiiiiiiDpT3_,@function
_ZL11k_bin_bcastIXadL_ZL6op_addffEE6__halfS0_S0_JPKS0_S2_S2_EEvPKT0_PKT1_PT2_iii15HIP_vector_typeIjLj3EESC_SC_SC_SC_iiiiiiiiiiiDpT3_: ; @_ZL11k_bin_bcastIXadL_ZL6op_addffEE6__halfS0_S0_JPKS0_S2_S2_EEvPKT0_PKT1_PT2_iii15HIP_vector_typeIjLj3EESC_SC_SC_SC_iiiiiiiiiiiDpT3_
; %bb.0:
	s_load_dwordx2 s[0:1], s[4:5], 0xb4
	s_load_dwordx8 s[12:19], s[4:5], 0x18
	s_add_u32 s2, s4, 0xa8
	s_addc_u32 s3, s5, 0
	s_waitcnt lgkmcnt(0)
	s_and_b32 s1, s1, 0xffff
	s_mul_i32 s8, s8, s1
	v_add_u32_e32 v3, s8, v2
	v_mul_hi_u32 v2, v3, s15
	s_lshr_b32 s1, s0, 16
	s_and_b32 s8, s0, 0xffff
	s_mul_i32 s6, s6, s8
	v_add_u32_e32 v2, v3, v2
	v_lshrrev_b32_e32 v2, s16, v2
	v_mul_lo_u32 v4, v2, s17
	s_mul_i32 s7, s7, s1
	v_add_u32_e32 v0, s6, v0
	v_add_u32_e32 v1, s7, v1
	v_cmp_gt_u32_e32 vcc, s12, v0
	v_cmp_gt_u32_e64 s[0:1], s13, v1
	v_sub_u32_e32 v3, v3, v4
	s_and_b64 s[0:1], vcc, s[0:1]
	v_cmp_gt_u32_e32 vcc, s14, v2
	s_and_b64 s[0:1], s[0:1], vcc
	v_cmp_gt_u32_e32 vcc, s17, v3
	s_and_b64 s[0:1], s[0:1], vcc
	s_and_saveexec_b64 s[6:7], s[0:1]
	s_cbranch_execz .LBB51_6
; %bb.1:
	v_cmp_gt_i32_e32 vcc, s12, v0
	s_and_b64 exec, exec, vcc
	s_cbranch_execz .LBB51_6
; %bb.2:
	s_load_dwordx8 s[44:51], s[4:5], 0x3c
	s_load_dwordx8 s[20:27], s[4:5], 0x60
	;; [unrolled: 1-line block ×3, first 2 shown]
	s_load_dword s9, s[2:3], 0x0
	s_load_dword s0, s[4:5], 0x5c
	s_waitcnt lgkmcnt(0)
	v_mul_hi_u32 v4, s44, v1
	v_mul_hi_u32 v5, s47, v2
	;; [unrolled: 1-line block ×3, first 2 shown]
	v_mul_lo_u32 v7, v3, s26
	v_add_u32_e32 v4, v1, v4
	v_add_u32_e32 v5, v2, v5
	;; [unrolled: 1-line block ×3, first 2 shown]
	v_lshrrev_b32_e32 v4, s45, v4
	v_lshrrev_b32_e32 v5, s48, v5
	;; [unrolled: 1-line block ×3, first 2 shown]
	v_mul_lo_u32 v4, v4, s46
	v_mul_lo_u32 v5, v5, s49
	;; [unrolled: 1-line block ×5, first 2 shown]
	v_sub_u32_e32 v4, v1, v4
	v_sub_u32_e32 v5, v2, v5
	;; [unrolled: 1-line block ×3, first 2 shown]
	s_load_dword s10, s[4:5], 0x38
	s_load_dwordx2 s[0:1], s[4:5], 0x0
	s_load_dwordx2 s[2:3], s[4:5], 0x10
	v_mul_lo_u32 v6, v6, s38
	v_mul_lo_u32 v5, v5, s37
	;; [unrolled: 1-line block ×6, first 2 shown]
	v_add3_u32 v1, v8, v9, v7
	v_mov_b32_e32 v2, 0
	v_mov_b32_e32 v8, v2
	v_lshlrev_b64 v[1:2], 1, v[1:2]
	v_add3_u32 v4, v5, v6, v4
	v_add3_u32 v7, v10, v11, v3
	s_waitcnt lgkmcnt(0)
	v_mov_b32_e32 v3, s1
	v_add_co_u32_e32 v5, vcc, s0, v1
	v_addc_co_u32_e32 v6, vcc, v3, v2, vcc
	v_lshlrev_b64 v[1:2], 1, v[7:8]
	s_load_dwordx2 s[4:5], s[4:5], 0xa0
	v_mov_b32_e32 v3, s3
	v_add_co_u32_e32 v7, vcc, s2, v1
	v_addc_co_u32_e32 v8, vcc, v3, v2, vcc
	s_cmp_lg_u64 s[0:1], 0
	v_mul_lo_u32 v2, s23, v0
	s_cselect_b64 s[0:1], -1, 0
	s_mul_i32 s8, s9, s8
	v_cndmask_b32_e64 v1, 0, 1, s[0:1]
	s_mov_b64 s[6:7], 0
	s_mul_i32 s9, s8, s23
	s_sub_i32 s10, 0, s10
	v_cmp_ne_u32_e64 s[0:1], 1, v1
	v_mov_b32_e32 v9, s41
	v_mov_b32_e32 v10, s43
	s_waitcnt lgkmcnt(0)
	v_mov_b32_e32 v11, s5
	s_branch .LBB51_4
.LBB51_3:                               ;   in Loop: Header=BB51_4 Depth=1
	v_mul_hi_u32 v1, s18, v0
	v_add_u32_e32 v2, s9, v2
	v_add_u32_e32 v1, v0, v1
	v_lshrrev_b32_e32 v1, s19, v1
	v_mad_u64_u32 v[12:13], s[2:3], s10, v1, v[0:1]
	v_mul_lo_u32 v1, v12, s27
	v_add_co_u32_e32 v12, vcc, v1, v4
	v_addc_co_u32_e64 v13, s[2:3], 0, 0, vcc
	v_lshlrev_b64 v[12:13], 1, v[12:13]
	v_ashrrev_i32_e32 v1, 31, v0
	v_add_co_u32_e32 v14, vcc, s40, v12
	v_addc_co_u32_e32 v15, vcc, v9, v13, vcc
	global_load_ushort v16, v[14:15], off
	v_add_co_u32_e32 v14, vcc, s42, v12
	v_addc_co_u32_e32 v15, vcc, v10, v13, vcc
	v_add_co_u32_e32 v12, vcc, s4, v12
	global_load_ushort v14, v[14:15], off
	v_addc_co_u32_e32 v13, vcc, v11, v13, vcc
	global_load_ushort v15, v[12:13], off
	v_lshlrev_b64 v[12:13], 1, v[0:1]
	v_add_u32_e32 v0, s8, v0
	v_cmp_le_i32_e32 vcc, s12, v0
	v_add_co_u32_e64 v12, s[2:3], v7, v12
	v_addc_co_u32_e64 v13, s[2:3], v8, v13, s[2:3]
	s_or_b64 s[6:7], vcc, s[6:7]
	s_waitcnt vmcnt(2)
	v_cvt_f32_f16_e32 v1, v16
	v_add_f32_e32 v1, v3, v1
	s_waitcnt vmcnt(1)
	v_cvt_f32_f16_e32 v14, v14
	s_waitcnt vmcnt(0)
	v_cvt_f32_f16_e32 v15, v15
	v_add_f32_e32 v1, v1, v14
	v_add_f32_e32 v1, v1, v15
	v_cvt_f16_f32_e32 v1, v1
	global_store_short v[12:13], v1, off
	s_andn2_b64 exec, exec, s[6:7]
	s_cbranch_execz .LBB51_6
.LBB51_4:                               ; =>This Inner Loop Header: Depth=1
	s_and_b64 vcc, exec, s[0:1]
	v_mov_b32_e32 v3, 0
	s_cbranch_vccnz .LBB51_3
; %bb.5:                                ;   in Loop: Header=BB51_4 Depth=1
	v_ashrrev_i32_e32 v3, 31, v2
	v_lshlrev_b64 v[12:13], 1, v[2:3]
	v_add_co_u32_e32 v12, vcc, v5, v12
	v_addc_co_u32_e32 v13, vcc, v6, v13, vcc
	global_load_ushort v1, v[12:13], off
	s_waitcnt vmcnt(0)
	v_cvt_f32_f16_e32 v3, v1
	s_branch .LBB51_3
.LBB51_6:
	s_endpgm
	.section	.rodata,"a",@progbits
	.p2align	6, 0x0
	.amdhsa_kernel _ZL11k_bin_bcastIXadL_ZL6op_addffEE6__halfS0_S0_JPKS0_S2_S2_EEvPKT0_PKT1_PT2_iii15HIP_vector_typeIjLj3EESC_SC_SC_SC_iiiiiiiiiiiDpT3_
		.amdhsa_group_segment_fixed_size 0
		.amdhsa_private_segment_fixed_size 0
		.amdhsa_kernarg_size 424
		.amdhsa_user_sgpr_count 6
		.amdhsa_user_sgpr_private_segment_buffer 1
		.amdhsa_user_sgpr_dispatch_ptr 0
		.amdhsa_user_sgpr_queue_ptr 0
		.amdhsa_user_sgpr_kernarg_segment_ptr 1
		.amdhsa_user_sgpr_dispatch_id 0
		.amdhsa_user_sgpr_flat_scratch_init 0
		.amdhsa_user_sgpr_private_segment_size 0
		.amdhsa_uses_dynamic_stack 0
		.amdhsa_system_sgpr_private_segment_wavefront_offset 0
		.amdhsa_system_sgpr_workgroup_id_x 1
		.amdhsa_system_sgpr_workgroup_id_y 1
		.amdhsa_system_sgpr_workgroup_id_z 1
		.amdhsa_system_sgpr_workgroup_info 0
		.amdhsa_system_vgpr_workitem_id 2
		.amdhsa_next_free_vgpr 17
		.amdhsa_next_free_sgpr 52
		.amdhsa_reserve_vcc 1
		.amdhsa_reserve_flat_scratch 0
		.amdhsa_float_round_mode_32 0
		.amdhsa_float_round_mode_16_64 0
		.amdhsa_float_denorm_mode_32 3
		.amdhsa_float_denorm_mode_16_64 3
		.amdhsa_dx10_clamp 1
		.amdhsa_ieee_mode 1
		.amdhsa_fp16_overflow 0
		.amdhsa_exception_fp_ieee_invalid_op 0
		.amdhsa_exception_fp_denorm_src 0
		.amdhsa_exception_fp_ieee_div_zero 0
		.amdhsa_exception_fp_ieee_overflow 0
		.amdhsa_exception_fp_ieee_underflow 0
		.amdhsa_exception_fp_ieee_inexact 0
		.amdhsa_exception_int_div_zero 0
	.end_amdhsa_kernel
	.section	.text._ZL11k_bin_bcastIXadL_ZL6op_addffEE6__halfS0_S0_JPKS0_S2_S2_EEvPKT0_PKT1_PT2_iii15HIP_vector_typeIjLj3EESC_SC_SC_SC_iiiiiiiiiiiDpT3_,"axG",@progbits,_ZL11k_bin_bcastIXadL_ZL6op_addffEE6__halfS0_S0_JPKS0_S2_S2_EEvPKT0_PKT1_PT2_iii15HIP_vector_typeIjLj3EESC_SC_SC_SC_iiiiiiiiiiiDpT3_,comdat
.Lfunc_end51:
	.size	_ZL11k_bin_bcastIXadL_ZL6op_addffEE6__halfS0_S0_JPKS0_S2_S2_EEvPKT0_PKT1_PT2_iii15HIP_vector_typeIjLj3EESC_SC_SC_SC_iiiiiiiiiiiDpT3_, .Lfunc_end51-_ZL11k_bin_bcastIXadL_ZL6op_addffEE6__halfS0_S0_JPKS0_S2_S2_EEvPKT0_PKT1_PT2_iii15HIP_vector_typeIjLj3EESC_SC_SC_SC_iiiiiiiiiiiDpT3_
                                        ; -- End function
	.set _ZL11k_bin_bcastIXadL_ZL6op_addffEE6__halfS0_S0_JPKS0_S2_S2_EEvPKT0_PKT1_PT2_iii15HIP_vector_typeIjLj3EESC_SC_SC_SC_iiiiiiiiiiiDpT3_.num_vgpr, 17
	.set _ZL11k_bin_bcastIXadL_ZL6op_addffEE6__halfS0_S0_JPKS0_S2_S2_EEvPKT0_PKT1_PT2_iii15HIP_vector_typeIjLj3EESC_SC_SC_SC_iiiiiiiiiiiDpT3_.num_agpr, 0
	.set _ZL11k_bin_bcastIXadL_ZL6op_addffEE6__halfS0_S0_JPKS0_S2_S2_EEvPKT0_PKT1_PT2_iii15HIP_vector_typeIjLj3EESC_SC_SC_SC_iiiiiiiiiiiDpT3_.numbered_sgpr, 52
	.set _ZL11k_bin_bcastIXadL_ZL6op_addffEE6__halfS0_S0_JPKS0_S2_S2_EEvPKT0_PKT1_PT2_iii15HIP_vector_typeIjLj3EESC_SC_SC_SC_iiiiiiiiiiiDpT3_.num_named_barrier, 0
	.set _ZL11k_bin_bcastIXadL_ZL6op_addffEE6__halfS0_S0_JPKS0_S2_S2_EEvPKT0_PKT1_PT2_iii15HIP_vector_typeIjLj3EESC_SC_SC_SC_iiiiiiiiiiiDpT3_.private_seg_size, 0
	.set _ZL11k_bin_bcastIXadL_ZL6op_addffEE6__halfS0_S0_JPKS0_S2_S2_EEvPKT0_PKT1_PT2_iii15HIP_vector_typeIjLj3EESC_SC_SC_SC_iiiiiiiiiiiDpT3_.uses_vcc, 1
	.set _ZL11k_bin_bcastIXadL_ZL6op_addffEE6__halfS0_S0_JPKS0_S2_S2_EEvPKT0_PKT1_PT2_iii15HIP_vector_typeIjLj3EESC_SC_SC_SC_iiiiiiiiiiiDpT3_.uses_flat_scratch, 0
	.set _ZL11k_bin_bcastIXadL_ZL6op_addffEE6__halfS0_S0_JPKS0_S2_S2_EEvPKT0_PKT1_PT2_iii15HIP_vector_typeIjLj3EESC_SC_SC_SC_iiiiiiiiiiiDpT3_.has_dyn_sized_stack, 0
	.set _ZL11k_bin_bcastIXadL_ZL6op_addffEE6__halfS0_S0_JPKS0_S2_S2_EEvPKT0_PKT1_PT2_iii15HIP_vector_typeIjLj3EESC_SC_SC_SC_iiiiiiiiiiiDpT3_.has_recursion, 0
	.set _ZL11k_bin_bcastIXadL_ZL6op_addffEE6__halfS0_S0_JPKS0_S2_S2_EEvPKT0_PKT1_PT2_iii15HIP_vector_typeIjLj3EESC_SC_SC_SC_iiiiiiiiiiiDpT3_.has_indirect_call, 0
	.section	.AMDGPU.csdata,"",@progbits
; Kernel info:
; codeLenInByte = 788
; TotalNumSgprs: 56
; NumVgprs: 17
; ScratchSize: 0
; MemoryBound: 0
; FloatMode: 240
; IeeeMode: 1
; LDSByteSize: 0 bytes/workgroup (compile time only)
; SGPRBlocks: 6
; VGPRBlocks: 4
; NumSGPRsForWavesPerEU: 56
; NumVGPRsForWavesPerEU: 17
; Occupancy: 10
; WaveLimiterHint : 1
; COMPUTE_PGM_RSRC2:SCRATCH_EN: 0
; COMPUTE_PGM_RSRC2:USER_SGPR: 6
; COMPUTE_PGM_RSRC2:TRAP_HANDLER: 0
; COMPUTE_PGM_RSRC2:TGID_X_EN: 1
; COMPUTE_PGM_RSRC2:TGID_Y_EN: 1
; COMPUTE_PGM_RSRC2:TGID_Z_EN: 1
; COMPUTE_PGM_RSRC2:TIDIG_COMP_CNT: 2
	.section	.text._ZL19k_bin_bcast_unravelIXadL_ZL6op_addffEE6__halffS0_JPKfS2_S2_EEvPKT0_PKT1_PT2_15HIP_vector_typeIjLj3EESC_SC_jSC_SC_SC_SC_SC_SC_iiiiiiiiiiiDpT3_,"axG",@progbits,_ZL19k_bin_bcast_unravelIXadL_ZL6op_addffEE6__halffS0_JPKfS2_S2_EEvPKT0_PKT1_PT2_15HIP_vector_typeIjLj3EESC_SC_jSC_SC_SC_SC_SC_SC_iiiiiiiiiiiDpT3_,comdat
	.globl	_ZL19k_bin_bcast_unravelIXadL_ZL6op_addffEE6__halffS0_JPKfS2_S2_EEvPKT0_PKT1_PT2_15HIP_vector_typeIjLj3EESC_SC_jSC_SC_SC_SC_SC_SC_iiiiiiiiiiiDpT3_ ; -- Begin function _ZL19k_bin_bcast_unravelIXadL_ZL6op_addffEE6__halffS0_JPKfS2_S2_EEvPKT0_PKT1_PT2_15HIP_vector_typeIjLj3EESC_SC_jSC_SC_SC_SC_SC_SC_iiiiiiiiiiiDpT3_
	.p2align	8
	.type	_ZL19k_bin_bcast_unravelIXadL_ZL6op_addffEE6__halffS0_JPKfS2_S2_EEvPKT0_PKT1_PT2_15HIP_vector_typeIjLj3EESC_SC_jSC_SC_SC_SC_SC_SC_iiiiiiiiiiiDpT3_,@function
_ZL19k_bin_bcast_unravelIXadL_ZL6op_addffEE6__halffS0_JPKfS2_S2_EEvPKT0_PKT1_PT2_15HIP_vector_typeIjLj3EESC_SC_jSC_SC_SC_SC_SC_SC_iiiiiiiiiiiDpT3_: ; @_ZL19k_bin_bcast_unravelIXadL_ZL6op_addffEE6__halffS0_JPKfS2_S2_EEvPKT0_PKT1_PT2_15HIP_vector_typeIjLj3EESC_SC_jSC_SC_SC_SC_SC_SC_iiiiiiiiiiiDpT3_
; %bb.0:
	s_load_dword s0, s[4:5], 0xdc
	s_load_dwordx8 s[8:15], s[4:5], 0x38
	s_waitcnt lgkmcnt(0)
	s_and_b32 s0, s0, 0xffff
	s_mul_i32 s6, s6, s0
	v_add_u32_e32 v0, s6, v0
	v_mul_hi_u32 v1, v0, s10
	s_load_dwordx4 s[0:3], s[4:5], 0x18
	s_waitcnt lgkmcnt(0)
	s_load_dword s3, s[4:5], 0x2c
	v_add_u32_e32 v1, v0, v1
	v_lshrrev_b32_e32 v1, s11, v1
	v_mul_lo_u32 v2, v1, s12
	v_sub_u32_e32 v0, v0, v2
	v_mul_hi_u32 v2, v0, s13
	v_add_u32_e32 v2, v0, v2
	v_lshrrev_b32_e32 v3, s14, v2
	v_mul_lo_u32 v2, v3, s15
	v_cmp_gt_u32_e32 vcc, s8, v3
	v_sub_u32_e32 v0, v0, v2
	v_mul_hi_u32 v2, v0, s0
	v_add_u32_e32 v2, v0, v2
	v_lshrrev_b32_e32 v4, s1, v2
	v_mul_lo_u32 v2, v4, s2
	s_waitcnt lgkmcnt(0)
	v_cmp_gt_u32_e64 s[0:1], s3, v4
	v_sub_u32_e32 v0, v0, v2
	v_cmp_gt_u32_e64 s[2:3], s2, v0
	s_and_b64 s[0:1], s[2:3], s[0:1]
	s_and_b64 s[0:1], s[0:1], vcc
	v_cmp_gt_u32_e32 vcc, s9, v1
	s_and_b64 s[0:1], vcc, s[0:1]
	s_and_saveexec_b64 s[2:3], s[0:1]
	s_cbranch_execz .LBB52_4
; %bb.1:
	s_load_dwordx2 s[6:7], s[4:5], 0x0
	s_load_dwordx4 s[0:3], s[4:5], 0xa8
	s_load_dwordx8 s[8:15], s[4:5], 0x88
	s_load_dwordx4 s[24:27], s[4:5], 0x78
	s_load_dwordx8 s[16:23], s[4:5], 0x58
	v_mov_b32_e32 v2, 0
	s_waitcnt lgkmcnt(0)
	s_cmp_eq_u64 s[6:7], 0
	v_mov_b32_e32 v5, 0
	s_cbranch_scc1 .LBB52_3
; %bb.2:
	v_mul_lo_u32 v5, v1, s14
	v_mul_lo_u32 v7, v3, s13
	;; [unrolled: 1-line block ×3, first 2 shown]
	v_mov_b32_e32 v6, 0
	v_mov_b32_e32 v9, s7
	v_add3_u32 v5, v7, v5, v8
	v_lshlrev_b64 v[7:8], 1, v[5:6]
	v_mul_lo_u32 v5, v0, s11
	v_add_co_u32_e32 v7, vcc, s6, v7
	v_addc_co_u32_e32 v8, vcc, v9, v8, vcc
	v_lshlrev_b64 v[5:6], 1, v[5:6]
	v_add_co_u32_e32 v5, vcc, v7, v5
	v_addc_co_u32_e32 v6, vcc, v8, v6, vcc
	global_load_ushort v5, v[5:6], off
	s_waitcnt vmcnt(0)
	v_cvt_f32_f16_e32 v5, v5
.LBB52_3:
	v_mul_hi_u32 v6, s19, v4
	v_mul_hi_u32 v7, s22, v3
	v_mul_hi_u32 v8, s25, v1
	v_mul_hi_u32 v9, s16, v0
	v_add_u32_e32 v6, v4, v6
	v_add_u32_e32 v7, v3, v7
	;; [unrolled: 1-line block ×3, first 2 shown]
	v_lshrrev_b32_e32 v6, s20, v6
	v_lshrrev_b32_e32 v7, s23, v7
	;; [unrolled: 1-line block ×3, first 2 shown]
	v_mul_lo_u32 v6, v6, s21
	v_mul_lo_u32 v7, v7, s24
	;; [unrolled: 1-line block ×3, first 2 shown]
	v_add_u32_e32 v9, v0, v9
	v_sub_u32_e32 v6, v4, v6
	v_sub_u32_e32 v7, v3, v7
	;; [unrolled: 1-line block ×3, first 2 shown]
	v_lshrrev_b32_e32 v9, s17, v9
	v_mul_lo_u32 v8, v8, s2
	v_mul_lo_u32 v7, v7, s1
	;; [unrolled: 1-line block ×4, first 2 shown]
	s_load_dwordx2 s[6:7], s[4:5], 0xc8
	s_load_dwordx4 s[0:3], s[4:5], 0xb8
	v_mul_lo_u32 v11, v4, s8
	v_add3_u32 v6, v7, v8, v6
	v_sub_u32_e32 v7, v0, v9
	v_mul_lo_u32 v7, v7, s15
	v_ashrrev_i32_e32 v8, 31, v6
	v_ashrrev_i32_e32 v9, 31, v7
	v_add_co_u32_e32 v6, vcc, v7, v6
	v_addc_co_u32_e32 v7, vcc, v9, v8, vcc
	v_lshlrev_b64 v[6:7], 2, v[6:7]
	s_waitcnt lgkmcnt(0)
	v_mov_b32_e32 v9, s1
	v_add_co_u32_e32 v8, vcc, s0, v6
	v_addc_co_u32_e32 v9, vcc, v9, v7, vcc
	global_load_dword v10, v[8:9], off
	v_mov_b32_e32 v9, s3
	v_add_co_u32_e32 v8, vcc, s2, v6
	v_addc_co_u32_e32 v9, vcc, v9, v7, vcc
	global_load_dword v8, v[8:9], off
	;; [unrolled: 4-line block ×3, first 2 shown]
	v_mul_lo_u32 v7, v1, s10
	v_mul_lo_u32 v9, v3, s9
	s_load_dwordx2 s[0:1], s[4:5], 0x10
	v_mov_b32_e32 v1, v2
	v_lshlrev_b64 v[3:4], 1, v[0:1]
	v_add3_u32 v1, v9, v7, v11
	v_lshlrev_b64 v[0:1], 1, v[1:2]
	s_waitcnt lgkmcnt(0)
	v_mov_b32_e32 v2, s1
	v_add_co_u32_e32 v0, vcc, s0, v0
	v_addc_co_u32_e32 v1, vcc, v2, v1, vcc
	v_add_co_u32_e32 v0, vcc, v0, v3
	v_addc_co_u32_e32 v1, vcc, v1, v4, vcc
	s_waitcnt vmcnt(2)
	v_add_f32_e32 v2, v5, v10
	s_waitcnt vmcnt(1)
	v_add_f32_e32 v2, v2, v8
	;; [unrolled: 2-line block ×3, first 2 shown]
	v_cvt_f16_f32_e32 v2, v2
	global_store_short v[0:1], v2, off
.LBB52_4:
	s_endpgm
	.section	.rodata,"a",@progbits
	.p2align	6, 0x0
	.amdhsa_kernel _ZL19k_bin_bcast_unravelIXadL_ZL6op_addffEE6__halffS0_JPKfS2_S2_EEvPKT0_PKT1_PT2_15HIP_vector_typeIjLj3EESC_SC_jSC_SC_SC_SC_SC_SC_iiiiiiiiiiiDpT3_
		.amdhsa_group_segment_fixed_size 0
		.amdhsa_private_segment_fixed_size 0
		.amdhsa_kernarg_size 464
		.amdhsa_user_sgpr_count 6
		.amdhsa_user_sgpr_private_segment_buffer 1
		.amdhsa_user_sgpr_dispatch_ptr 0
		.amdhsa_user_sgpr_queue_ptr 0
		.amdhsa_user_sgpr_kernarg_segment_ptr 1
		.amdhsa_user_sgpr_dispatch_id 0
		.amdhsa_user_sgpr_flat_scratch_init 0
		.amdhsa_user_sgpr_private_segment_size 0
		.amdhsa_uses_dynamic_stack 0
		.amdhsa_system_sgpr_private_segment_wavefront_offset 0
		.amdhsa_system_sgpr_workgroup_id_x 1
		.amdhsa_system_sgpr_workgroup_id_y 0
		.amdhsa_system_sgpr_workgroup_id_z 0
		.amdhsa_system_sgpr_workgroup_info 0
		.amdhsa_system_vgpr_workitem_id 0
		.amdhsa_next_free_vgpr 12
		.amdhsa_next_free_sgpr 28
		.amdhsa_reserve_vcc 1
		.amdhsa_reserve_flat_scratch 0
		.amdhsa_float_round_mode_32 0
		.amdhsa_float_round_mode_16_64 0
		.amdhsa_float_denorm_mode_32 3
		.amdhsa_float_denorm_mode_16_64 3
		.amdhsa_dx10_clamp 1
		.amdhsa_ieee_mode 1
		.amdhsa_fp16_overflow 0
		.amdhsa_exception_fp_ieee_invalid_op 0
		.amdhsa_exception_fp_denorm_src 0
		.amdhsa_exception_fp_ieee_div_zero 0
		.amdhsa_exception_fp_ieee_overflow 0
		.amdhsa_exception_fp_ieee_underflow 0
		.amdhsa_exception_fp_ieee_inexact 0
		.amdhsa_exception_int_div_zero 0
	.end_amdhsa_kernel
	.section	.text._ZL19k_bin_bcast_unravelIXadL_ZL6op_addffEE6__halffS0_JPKfS2_S2_EEvPKT0_PKT1_PT2_15HIP_vector_typeIjLj3EESC_SC_jSC_SC_SC_SC_SC_SC_iiiiiiiiiiiDpT3_,"axG",@progbits,_ZL19k_bin_bcast_unravelIXadL_ZL6op_addffEE6__halffS0_JPKfS2_S2_EEvPKT0_PKT1_PT2_15HIP_vector_typeIjLj3EESC_SC_jSC_SC_SC_SC_SC_SC_iiiiiiiiiiiDpT3_,comdat
.Lfunc_end52:
	.size	_ZL19k_bin_bcast_unravelIXadL_ZL6op_addffEE6__halffS0_JPKfS2_S2_EEvPKT0_PKT1_PT2_15HIP_vector_typeIjLj3EESC_SC_jSC_SC_SC_SC_SC_SC_iiiiiiiiiiiDpT3_, .Lfunc_end52-_ZL19k_bin_bcast_unravelIXadL_ZL6op_addffEE6__halffS0_JPKfS2_S2_EEvPKT0_PKT1_PT2_15HIP_vector_typeIjLj3EESC_SC_jSC_SC_SC_SC_SC_SC_iiiiiiiiiiiDpT3_
                                        ; -- End function
	.set _ZL19k_bin_bcast_unravelIXadL_ZL6op_addffEE6__halffS0_JPKfS2_S2_EEvPKT0_PKT1_PT2_15HIP_vector_typeIjLj3EESC_SC_jSC_SC_SC_SC_SC_SC_iiiiiiiiiiiDpT3_.num_vgpr, 12
	.set _ZL19k_bin_bcast_unravelIXadL_ZL6op_addffEE6__halffS0_JPKfS2_S2_EEvPKT0_PKT1_PT2_15HIP_vector_typeIjLj3EESC_SC_jSC_SC_SC_SC_SC_SC_iiiiiiiiiiiDpT3_.num_agpr, 0
	.set _ZL19k_bin_bcast_unravelIXadL_ZL6op_addffEE6__halffS0_JPKfS2_S2_EEvPKT0_PKT1_PT2_15HIP_vector_typeIjLj3EESC_SC_jSC_SC_SC_SC_SC_SC_iiiiiiiiiiiDpT3_.numbered_sgpr, 28
	.set _ZL19k_bin_bcast_unravelIXadL_ZL6op_addffEE6__halffS0_JPKfS2_S2_EEvPKT0_PKT1_PT2_15HIP_vector_typeIjLj3EESC_SC_jSC_SC_SC_SC_SC_SC_iiiiiiiiiiiDpT3_.num_named_barrier, 0
	.set _ZL19k_bin_bcast_unravelIXadL_ZL6op_addffEE6__halffS0_JPKfS2_S2_EEvPKT0_PKT1_PT2_15HIP_vector_typeIjLj3EESC_SC_jSC_SC_SC_SC_SC_SC_iiiiiiiiiiiDpT3_.private_seg_size, 0
	.set _ZL19k_bin_bcast_unravelIXadL_ZL6op_addffEE6__halffS0_JPKfS2_S2_EEvPKT0_PKT1_PT2_15HIP_vector_typeIjLj3EESC_SC_jSC_SC_SC_SC_SC_SC_iiiiiiiiiiiDpT3_.uses_vcc, 1
	.set _ZL19k_bin_bcast_unravelIXadL_ZL6op_addffEE6__halffS0_JPKfS2_S2_EEvPKT0_PKT1_PT2_15HIP_vector_typeIjLj3EESC_SC_jSC_SC_SC_SC_SC_SC_iiiiiiiiiiiDpT3_.uses_flat_scratch, 0
	.set _ZL19k_bin_bcast_unravelIXadL_ZL6op_addffEE6__halffS0_JPKfS2_S2_EEvPKT0_PKT1_PT2_15HIP_vector_typeIjLj3EESC_SC_jSC_SC_SC_SC_SC_SC_iiiiiiiiiiiDpT3_.has_dyn_sized_stack, 0
	.set _ZL19k_bin_bcast_unravelIXadL_ZL6op_addffEE6__halffS0_JPKfS2_S2_EEvPKT0_PKT1_PT2_15HIP_vector_typeIjLj3EESC_SC_jSC_SC_SC_SC_SC_SC_iiiiiiiiiiiDpT3_.has_recursion, 0
	.set _ZL19k_bin_bcast_unravelIXadL_ZL6op_addffEE6__halffS0_JPKfS2_S2_EEvPKT0_PKT1_PT2_15HIP_vector_typeIjLj3EESC_SC_jSC_SC_SC_SC_SC_SC_iiiiiiiiiiiDpT3_.has_indirect_call, 0
	.section	.AMDGPU.csdata,"",@progbits
; Kernel info:
; codeLenInByte = 724
; TotalNumSgprs: 32
; NumVgprs: 12
; ScratchSize: 0
; MemoryBound: 0
; FloatMode: 240
; IeeeMode: 1
; LDSByteSize: 0 bytes/workgroup (compile time only)
; SGPRBlocks: 3
; VGPRBlocks: 2
; NumSGPRsForWavesPerEU: 32
; NumVGPRsForWavesPerEU: 12
; Occupancy: 10
; WaveLimiterHint : 1
; COMPUTE_PGM_RSRC2:SCRATCH_EN: 0
; COMPUTE_PGM_RSRC2:USER_SGPR: 6
; COMPUTE_PGM_RSRC2:TRAP_HANDLER: 0
; COMPUTE_PGM_RSRC2:TGID_X_EN: 1
; COMPUTE_PGM_RSRC2:TGID_Y_EN: 0
; COMPUTE_PGM_RSRC2:TGID_Z_EN: 0
; COMPUTE_PGM_RSRC2:TIDIG_COMP_CNT: 0
	.section	.text._ZL11k_bin_bcastIXadL_ZL6op_addffEE6__halffS0_JPKfS2_S2_EEvPKT0_PKT1_PT2_iii15HIP_vector_typeIjLj3EESC_SC_SC_SC_iiiiiiiiiiiDpT3_,"axG",@progbits,_ZL11k_bin_bcastIXadL_ZL6op_addffEE6__halffS0_JPKfS2_S2_EEvPKT0_PKT1_PT2_iii15HIP_vector_typeIjLj3EESC_SC_SC_SC_iiiiiiiiiiiDpT3_,comdat
	.globl	_ZL11k_bin_bcastIXadL_ZL6op_addffEE6__halffS0_JPKfS2_S2_EEvPKT0_PKT1_PT2_iii15HIP_vector_typeIjLj3EESC_SC_SC_SC_iiiiiiiiiiiDpT3_ ; -- Begin function _ZL11k_bin_bcastIXadL_ZL6op_addffEE6__halffS0_JPKfS2_S2_EEvPKT0_PKT1_PT2_iii15HIP_vector_typeIjLj3EESC_SC_SC_SC_iiiiiiiiiiiDpT3_
	.p2align	8
	.type	_ZL11k_bin_bcastIXadL_ZL6op_addffEE6__halffS0_JPKfS2_S2_EEvPKT0_PKT1_PT2_iii15HIP_vector_typeIjLj3EESC_SC_SC_SC_iiiiiiiiiiiDpT3_,@function
_ZL11k_bin_bcastIXadL_ZL6op_addffEE6__halffS0_JPKfS2_S2_EEvPKT0_PKT1_PT2_iii15HIP_vector_typeIjLj3EESC_SC_SC_SC_iiiiiiiiiiiDpT3_: ; @_ZL11k_bin_bcastIXadL_ZL6op_addffEE6__halffS0_JPKfS2_S2_EEvPKT0_PKT1_PT2_iii15HIP_vector_typeIjLj3EESC_SC_SC_SC_iiiiiiiiiiiDpT3_
; %bb.0:
	s_load_dwordx2 s[0:1], s[4:5], 0xb4
	s_load_dwordx8 s[12:19], s[4:5], 0x18
	s_add_u32 s2, s4, 0xa8
	s_addc_u32 s3, s5, 0
	s_waitcnt lgkmcnt(0)
	s_and_b32 s1, s1, 0xffff
	s_mul_i32 s8, s8, s1
	v_add_u32_e32 v3, s8, v2
	v_mul_hi_u32 v2, v3, s15
	s_lshr_b32 s1, s0, 16
	s_and_b32 s8, s0, 0xffff
	s_mul_i32 s6, s6, s8
	v_add_u32_e32 v2, v3, v2
	v_lshrrev_b32_e32 v2, s16, v2
	v_mul_lo_u32 v4, v2, s17
	s_mul_i32 s7, s7, s1
	v_add_u32_e32 v0, s6, v0
	v_add_u32_e32 v1, s7, v1
	v_cmp_gt_u32_e32 vcc, s12, v0
	v_cmp_gt_u32_e64 s[0:1], s13, v1
	v_sub_u32_e32 v3, v3, v4
	s_and_b64 s[0:1], vcc, s[0:1]
	v_cmp_gt_u32_e32 vcc, s14, v2
	s_and_b64 s[0:1], s[0:1], vcc
	v_cmp_gt_u32_e32 vcc, s17, v3
	s_and_b64 s[0:1], s[0:1], vcc
	s_and_saveexec_b64 s[6:7], s[0:1]
	s_cbranch_execz .LBB53_6
; %bb.1:
	v_cmp_gt_i32_e32 vcc, s12, v0
	s_and_b64 exec, exec, vcc
	s_cbranch_execz .LBB53_6
; %bb.2:
	s_load_dwordx8 s[44:51], s[4:5], 0x3c
	s_load_dwordx8 s[20:27], s[4:5], 0x60
	;; [unrolled: 1-line block ×3, first 2 shown]
	s_load_dword s9, s[2:3], 0x0
	s_load_dword s0, s[4:5], 0x5c
	s_waitcnt lgkmcnt(0)
	v_mul_hi_u32 v4, s44, v1
	v_mul_hi_u32 v5, s47, v2
	;; [unrolled: 1-line block ×3, first 2 shown]
	v_mul_lo_u32 v7, v3, s26
	v_add_u32_e32 v4, v1, v4
	v_add_u32_e32 v5, v2, v5
	;; [unrolled: 1-line block ×3, first 2 shown]
	v_lshrrev_b32_e32 v4, s45, v4
	v_lshrrev_b32_e32 v5, s48, v5
	;; [unrolled: 1-line block ×3, first 2 shown]
	v_mul_lo_u32 v4, v4, s46
	v_mul_lo_u32 v5, v5, s49
	;; [unrolled: 1-line block ×5, first 2 shown]
	v_sub_u32_e32 v4, v1, v4
	v_sub_u32_e32 v5, v2, v5
	;; [unrolled: 1-line block ×3, first 2 shown]
	s_load_dword s10, s[4:5], 0x38
	s_load_dwordx2 s[0:1], s[4:5], 0x0
	s_load_dwordx2 s[2:3], s[4:5], 0x10
	v_mul_lo_u32 v6, v6, s38
	v_mul_lo_u32 v5, v5, s37
	;; [unrolled: 1-line block ×6, first 2 shown]
	v_add3_u32 v1, v8, v9, v7
	v_mov_b32_e32 v2, 0
	v_mov_b32_e32 v8, v2
	v_lshlrev_b64 v[1:2], 1, v[1:2]
	v_add3_u32 v4, v5, v6, v4
	v_add3_u32 v7, v10, v11, v3
	s_waitcnt lgkmcnt(0)
	v_mov_b32_e32 v3, s1
	v_add_co_u32_e32 v5, vcc, s0, v1
	v_addc_co_u32_e32 v6, vcc, v3, v2, vcc
	v_lshlrev_b64 v[1:2], 1, v[7:8]
	s_load_dwordx2 s[4:5], s[4:5], 0xa0
	v_mov_b32_e32 v3, s3
	v_add_co_u32_e32 v7, vcc, s2, v1
	v_addc_co_u32_e32 v8, vcc, v3, v2, vcc
	s_cmp_lg_u64 s[0:1], 0
	v_mul_lo_u32 v2, s23, v0
	s_cselect_b64 s[0:1], -1, 0
	s_mul_i32 s8, s9, s8
	v_cndmask_b32_e64 v1, 0, 1, s[0:1]
	s_mov_b64 s[6:7], 0
	s_mul_i32 s9, s8, s23
	s_sub_i32 s10, 0, s10
	v_cmp_ne_u32_e64 s[0:1], 1, v1
	v_mov_b32_e32 v9, s41
	v_mov_b32_e32 v10, s43
	s_waitcnt lgkmcnt(0)
	v_mov_b32_e32 v11, s5
	s_branch .LBB53_4
.LBB53_3:                               ;   in Loop: Header=BB53_4 Depth=1
	v_mul_hi_u32 v1, s18, v0
	v_add_u32_e32 v2, s9, v2
	v_add_u32_e32 v1, v0, v1
	v_lshrrev_b32_e32 v1, s19, v1
	v_mad_u64_u32 v[12:13], s[2:3], s10, v1, v[0:1]
	v_mul_lo_u32 v1, v12, s27
	v_add_co_u32_e32 v12, vcc, v1, v4
	v_addc_co_u32_e64 v13, s[2:3], 0, 0, vcc
	v_lshlrev_b64 v[12:13], 2, v[12:13]
	v_ashrrev_i32_e32 v1, 31, v0
	v_add_co_u32_e32 v14, vcc, s40, v12
	v_addc_co_u32_e32 v15, vcc, v9, v13, vcc
	global_load_dword v16, v[14:15], off
	v_add_co_u32_e32 v14, vcc, s42, v12
	v_addc_co_u32_e32 v15, vcc, v10, v13, vcc
	v_add_co_u32_e32 v12, vcc, s4, v12
	global_load_dword v14, v[14:15], off
	v_addc_co_u32_e32 v13, vcc, v11, v13, vcc
	global_load_dword v15, v[12:13], off
	v_lshlrev_b64 v[12:13], 1, v[0:1]
	v_add_u32_e32 v0, s8, v0
	v_cmp_le_i32_e32 vcc, s12, v0
	v_add_co_u32_e64 v12, s[2:3], v7, v12
	v_addc_co_u32_e64 v13, s[2:3], v8, v13, s[2:3]
	s_or_b64 s[6:7], vcc, s[6:7]
	s_waitcnt vmcnt(2)
	v_add_f32_e32 v1, v3, v16
	s_waitcnt vmcnt(1)
	v_add_f32_e32 v1, v1, v14
	;; [unrolled: 2-line block ×3, first 2 shown]
	v_cvt_f16_f32_e32 v1, v1
	global_store_short v[12:13], v1, off
	s_andn2_b64 exec, exec, s[6:7]
	s_cbranch_execz .LBB53_6
.LBB53_4:                               ; =>This Inner Loop Header: Depth=1
	s_and_b64 vcc, exec, s[0:1]
	v_mov_b32_e32 v3, 0
	s_cbranch_vccnz .LBB53_3
; %bb.5:                                ;   in Loop: Header=BB53_4 Depth=1
	v_ashrrev_i32_e32 v3, 31, v2
	v_lshlrev_b64 v[12:13], 1, v[2:3]
	v_add_co_u32_e32 v12, vcc, v5, v12
	v_addc_co_u32_e32 v13, vcc, v6, v13, vcc
	global_load_ushort v1, v[12:13], off
	s_waitcnt vmcnt(0)
	v_cvt_f32_f16_e32 v3, v1
	s_branch .LBB53_3
.LBB53_6:
	s_endpgm
	.section	.rodata,"a",@progbits
	.p2align	6, 0x0
	.amdhsa_kernel _ZL11k_bin_bcastIXadL_ZL6op_addffEE6__halffS0_JPKfS2_S2_EEvPKT0_PKT1_PT2_iii15HIP_vector_typeIjLj3EESC_SC_SC_SC_iiiiiiiiiiiDpT3_
		.amdhsa_group_segment_fixed_size 0
		.amdhsa_private_segment_fixed_size 0
		.amdhsa_kernarg_size 424
		.amdhsa_user_sgpr_count 6
		.amdhsa_user_sgpr_private_segment_buffer 1
		.amdhsa_user_sgpr_dispatch_ptr 0
		.amdhsa_user_sgpr_queue_ptr 0
		.amdhsa_user_sgpr_kernarg_segment_ptr 1
		.amdhsa_user_sgpr_dispatch_id 0
		.amdhsa_user_sgpr_flat_scratch_init 0
		.amdhsa_user_sgpr_private_segment_size 0
		.amdhsa_uses_dynamic_stack 0
		.amdhsa_system_sgpr_private_segment_wavefront_offset 0
		.amdhsa_system_sgpr_workgroup_id_x 1
		.amdhsa_system_sgpr_workgroup_id_y 1
		.amdhsa_system_sgpr_workgroup_id_z 1
		.amdhsa_system_sgpr_workgroup_info 0
		.amdhsa_system_vgpr_workitem_id 2
		.amdhsa_next_free_vgpr 17
		.amdhsa_next_free_sgpr 52
		.amdhsa_reserve_vcc 1
		.amdhsa_reserve_flat_scratch 0
		.amdhsa_float_round_mode_32 0
		.amdhsa_float_round_mode_16_64 0
		.amdhsa_float_denorm_mode_32 3
		.amdhsa_float_denorm_mode_16_64 3
		.amdhsa_dx10_clamp 1
		.amdhsa_ieee_mode 1
		.amdhsa_fp16_overflow 0
		.amdhsa_exception_fp_ieee_invalid_op 0
		.amdhsa_exception_fp_denorm_src 0
		.amdhsa_exception_fp_ieee_div_zero 0
		.amdhsa_exception_fp_ieee_overflow 0
		.amdhsa_exception_fp_ieee_underflow 0
		.amdhsa_exception_fp_ieee_inexact 0
		.amdhsa_exception_int_div_zero 0
	.end_amdhsa_kernel
	.section	.text._ZL11k_bin_bcastIXadL_ZL6op_addffEE6__halffS0_JPKfS2_S2_EEvPKT0_PKT1_PT2_iii15HIP_vector_typeIjLj3EESC_SC_SC_SC_iiiiiiiiiiiDpT3_,"axG",@progbits,_ZL11k_bin_bcastIXadL_ZL6op_addffEE6__halffS0_JPKfS2_S2_EEvPKT0_PKT1_PT2_iii15HIP_vector_typeIjLj3EESC_SC_SC_SC_iiiiiiiiiiiDpT3_,comdat
.Lfunc_end53:
	.size	_ZL11k_bin_bcastIXadL_ZL6op_addffEE6__halffS0_JPKfS2_S2_EEvPKT0_PKT1_PT2_iii15HIP_vector_typeIjLj3EESC_SC_SC_SC_iiiiiiiiiiiDpT3_, .Lfunc_end53-_ZL11k_bin_bcastIXadL_ZL6op_addffEE6__halffS0_JPKfS2_S2_EEvPKT0_PKT1_PT2_iii15HIP_vector_typeIjLj3EESC_SC_SC_SC_iiiiiiiiiiiDpT3_
                                        ; -- End function
	.set _ZL11k_bin_bcastIXadL_ZL6op_addffEE6__halffS0_JPKfS2_S2_EEvPKT0_PKT1_PT2_iii15HIP_vector_typeIjLj3EESC_SC_SC_SC_iiiiiiiiiiiDpT3_.num_vgpr, 17
	.set _ZL11k_bin_bcastIXadL_ZL6op_addffEE6__halffS0_JPKfS2_S2_EEvPKT0_PKT1_PT2_iii15HIP_vector_typeIjLj3EESC_SC_SC_SC_iiiiiiiiiiiDpT3_.num_agpr, 0
	.set _ZL11k_bin_bcastIXadL_ZL6op_addffEE6__halffS0_JPKfS2_S2_EEvPKT0_PKT1_PT2_iii15HIP_vector_typeIjLj3EESC_SC_SC_SC_iiiiiiiiiiiDpT3_.numbered_sgpr, 52
	.set _ZL11k_bin_bcastIXadL_ZL6op_addffEE6__halffS0_JPKfS2_S2_EEvPKT0_PKT1_PT2_iii15HIP_vector_typeIjLj3EESC_SC_SC_SC_iiiiiiiiiiiDpT3_.num_named_barrier, 0
	.set _ZL11k_bin_bcastIXadL_ZL6op_addffEE6__halffS0_JPKfS2_S2_EEvPKT0_PKT1_PT2_iii15HIP_vector_typeIjLj3EESC_SC_SC_SC_iiiiiiiiiiiDpT3_.private_seg_size, 0
	.set _ZL11k_bin_bcastIXadL_ZL6op_addffEE6__halffS0_JPKfS2_S2_EEvPKT0_PKT1_PT2_iii15HIP_vector_typeIjLj3EESC_SC_SC_SC_iiiiiiiiiiiDpT3_.uses_vcc, 1
	.set _ZL11k_bin_bcastIXadL_ZL6op_addffEE6__halffS0_JPKfS2_S2_EEvPKT0_PKT1_PT2_iii15HIP_vector_typeIjLj3EESC_SC_SC_SC_iiiiiiiiiiiDpT3_.uses_flat_scratch, 0
	.set _ZL11k_bin_bcastIXadL_ZL6op_addffEE6__halffS0_JPKfS2_S2_EEvPKT0_PKT1_PT2_iii15HIP_vector_typeIjLj3EESC_SC_SC_SC_iiiiiiiiiiiDpT3_.has_dyn_sized_stack, 0
	.set _ZL11k_bin_bcastIXadL_ZL6op_addffEE6__halffS0_JPKfS2_S2_EEvPKT0_PKT1_PT2_iii15HIP_vector_typeIjLj3EESC_SC_SC_SC_iiiiiiiiiiiDpT3_.has_recursion, 0
	.set _ZL11k_bin_bcastIXadL_ZL6op_addffEE6__halffS0_JPKfS2_S2_EEvPKT0_PKT1_PT2_iii15HIP_vector_typeIjLj3EESC_SC_SC_SC_iiiiiiiiiiiDpT3_.has_indirect_call, 0
	.section	.AMDGPU.csdata,"",@progbits
; Kernel info:
; codeLenInByte = 776
; TotalNumSgprs: 56
; NumVgprs: 17
; ScratchSize: 0
; MemoryBound: 0
; FloatMode: 240
; IeeeMode: 1
; LDSByteSize: 0 bytes/workgroup (compile time only)
; SGPRBlocks: 6
; VGPRBlocks: 4
; NumSGPRsForWavesPerEU: 56
; NumVGPRsForWavesPerEU: 17
; Occupancy: 10
; WaveLimiterHint : 1
; COMPUTE_PGM_RSRC2:SCRATCH_EN: 0
; COMPUTE_PGM_RSRC2:USER_SGPR: 6
; COMPUTE_PGM_RSRC2:TRAP_HANDLER: 0
; COMPUTE_PGM_RSRC2:TGID_X_EN: 1
; COMPUTE_PGM_RSRC2:TGID_Y_EN: 1
; COMPUTE_PGM_RSRC2:TGID_Z_EN: 1
; COMPUTE_PGM_RSRC2:TIDIG_COMP_CNT: 2
	.section	.text._ZL19k_bin_bcast_unravelIXadL_ZL6op_addffEE6__halfffJPKfS2_S2_EEvPKT0_PKT1_PT2_15HIP_vector_typeIjLj3EESC_SC_jSC_SC_SC_SC_SC_SC_iiiiiiiiiiiDpT3_,"axG",@progbits,_ZL19k_bin_bcast_unravelIXadL_ZL6op_addffEE6__halfffJPKfS2_S2_EEvPKT0_PKT1_PT2_15HIP_vector_typeIjLj3EESC_SC_jSC_SC_SC_SC_SC_SC_iiiiiiiiiiiDpT3_,comdat
	.globl	_ZL19k_bin_bcast_unravelIXadL_ZL6op_addffEE6__halfffJPKfS2_S2_EEvPKT0_PKT1_PT2_15HIP_vector_typeIjLj3EESC_SC_jSC_SC_SC_SC_SC_SC_iiiiiiiiiiiDpT3_ ; -- Begin function _ZL19k_bin_bcast_unravelIXadL_ZL6op_addffEE6__halfffJPKfS2_S2_EEvPKT0_PKT1_PT2_15HIP_vector_typeIjLj3EESC_SC_jSC_SC_SC_SC_SC_SC_iiiiiiiiiiiDpT3_
	.p2align	8
	.type	_ZL19k_bin_bcast_unravelIXadL_ZL6op_addffEE6__halfffJPKfS2_S2_EEvPKT0_PKT1_PT2_15HIP_vector_typeIjLj3EESC_SC_jSC_SC_SC_SC_SC_SC_iiiiiiiiiiiDpT3_,@function
_ZL19k_bin_bcast_unravelIXadL_ZL6op_addffEE6__halfffJPKfS2_S2_EEvPKT0_PKT1_PT2_15HIP_vector_typeIjLj3EESC_SC_jSC_SC_SC_SC_SC_SC_iiiiiiiiiiiDpT3_: ; @_ZL19k_bin_bcast_unravelIXadL_ZL6op_addffEE6__halfffJPKfS2_S2_EEvPKT0_PKT1_PT2_15HIP_vector_typeIjLj3EESC_SC_jSC_SC_SC_SC_SC_SC_iiiiiiiiiiiDpT3_
; %bb.0:
	s_load_dword s0, s[4:5], 0xdc
	s_load_dwordx8 s[8:15], s[4:5], 0x38
	s_waitcnt lgkmcnt(0)
	s_and_b32 s0, s0, 0xffff
	s_mul_i32 s6, s6, s0
	v_add_u32_e32 v0, s6, v0
	v_mul_hi_u32 v1, v0, s10
	s_load_dwordx4 s[0:3], s[4:5], 0x18
	s_waitcnt lgkmcnt(0)
	s_load_dword s3, s[4:5], 0x2c
	v_add_u32_e32 v1, v0, v1
	v_lshrrev_b32_e32 v1, s11, v1
	v_mul_lo_u32 v2, v1, s12
	v_sub_u32_e32 v0, v0, v2
	v_mul_hi_u32 v2, v0, s13
	v_add_u32_e32 v2, v0, v2
	v_lshrrev_b32_e32 v3, s14, v2
	v_mul_lo_u32 v2, v3, s15
	v_cmp_gt_u32_e32 vcc, s8, v3
	v_sub_u32_e32 v0, v0, v2
	v_mul_hi_u32 v2, v0, s0
	v_add_u32_e32 v2, v0, v2
	v_lshrrev_b32_e32 v4, s1, v2
	v_mul_lo_u32 v2, v4, s2
	s_waitcnt lgkmcnt(0)
	v_cmp_gt_u32_e64 s[0:1], s3, v4
	v_sub_u32_e32 v0, v0, v2
	v_cmp_gt_u32_e64 s[2:3], s2, v0
	s_and_b64 s[0:1], s[2:3], s[0:1]
	s_and_b64 s[0:1], s[0:1], vcc
	v_cmp_gt_u32_e32 vcc, s9, v1
	s_and_b64 s[0:1], vcc, s[0:1]
	s_and_saveexec_b64 s[2:3], s[0:1]
	s_cbranch_execz .LBB54_4
; %bb.1:
	s_load_dwordx2 s[6:7], s[4:5], 0x0
	s_load_dwordx4 s[0:3], s[4:5], 0xa8
	s_load_dwordx8 s[8:15], s[4:5], 0x88
	s_load_dwordx4 s[24:27], s[4:5], 0x78
	s_load_dwordx8 s[16:23], s[4:5], 0x58
	v_mov_b32_e32 v2, 0
	s_waitcnt lgkmcnt(0)
	s_cmp_eq_u64 s[6:7], 0
	v_mov_b32_e32 v5, 0
	s_cbranch_scc1 .LBB54_3
; %bb.2:
	v_mul_lo_u32 v5, v1, s14
	v_mul_lo_u32 v7, v3, s13
	;; [unrolled: 1-line block ×3, first 2 shown]
	v_mov_b32_e32 v6, 0
	v_mov_b32_e32 v9, s7
	v_add3_u32 v5, v7, v5, v8
	v_lshlrev_b64 v[7:8], 1, v[5:6]
	v_mul_lo_u32 v5, v0, s11
	v_add_co_u32_e32 v7, vcc, s6, v7
	v_addc_co_u32_e32 v8, vcc, v9, v8, vcc
	v_lshlrev_b64 v[5:6], 1, v[5:6]
	v_add_co_u32_e32 v5, vcc, v7, v5
	v_addc_co_u32_e32 v6, vcc, v8, v6, vcc
	global_load_ushort v5, v[5:6], off
	s_waitcnt vmcnt(0)
	v_cvt_f32_f16_e32 v5, v5
.LBB54_3:
	v_mul_hi_u32 v6, s19, v4
	v_mul_hi_u32 v7, s22, v3
	;; [unrolled: 1-line block ×4, first 2 shown]
	v_add_u32_e32 v6, v4, v6
	v_add_u32_e32 v7, v3, v7
	;; [unrolled: 1-line block ×3, first 2 shown]
	v_lshrrev_b32_e32 v6, s20, v6
	v_lshrrev_b32_e32 v7, s23, v7
	;; [unrolled: 1-line block ×3, first 2 shown]
	v_mul_lo_u32 v6, v6, s21
	v_mul_lo_u32 v7, v7, s24
	;; [unrolled: 1-line block ×3, first 2 shown]
	v_add_u32_e32 v9, v0, v9
	v_sub_u32_e32 v6, v4, v6
	v_sub_u32_e32 v7, v3, v7
	;; [unrolled: 1-line block ×3, first 2 shown]
	v_lshrrev_b32_e32 v9, s17, v9
	v_mul_lo_u32 v8, v8, s2
	v_mul_lo_u32 v7, v7, s1
	;; [unrolled: 1-line block ×4, first 2 shown]
	s_load_dwordx2 s[6:7], s[4:5], 0xc8
	s_load_dwordx4 s[0:3], s[4:5], 0xb8
	v_mul_lo_u32 v11, v4, s8
	v_add3_u32 v6, v7, v8, v6
	v_sub_u32_e32 v7, v0, v9
	v_mul_lo_u32 v7, v7, s15
	v_ashrrev_i32_e32 v8, 31, v6
	v_ashrrev_i32_e32 v9, 31, v7
	v_add_co_u32_e32 v6, vcc, v7, v6
	v_addc_co_u32_e32 v7, vcc, v9, v8, vcc
	v_lshlrev_b64 v[6:7], 2, v[6:7]
	s_waitcnt lgkmcnt(0)
	v_mov_b32_e32 v9, s1
	v_add_co_u32_e32 v8, vcc, s0, v6
	v_addc_co_u32_e32 v9, vcc, v9, v7, vcc
	global_load_dword v10, v[8:9], off
	v_mov_b32_e32 v9, s3
	v_add_co_u32_e32 v8, vcc, s2, v6
	v_addc_co_u32_e32 v9, vcc, v9, v7, vcc
	global_load_dword v8, v[8:9], off
	;; [unrolled: 4-line block ×3, first 2 shown]
	v_mul_lo_u32 v7, v1, s10
	v_mul_lo_u32 v9, v3, s9
	s_load_dwordx2 s[0:1], s[4:5], 0x10
	v_mov_b32_e32 v1, v2
	v_lshlrev_b64 v[3:4], 2, v[0:1]
	v_add3_u32 v1, v9, v7, v11
	v_lshlrev_b64 v[0:1], 2, v[1:2]
	s_waitcnt lgkmcnt(0)
	v_mov_b32_e32 v2, s1
	v_add_co_u32_e32 v0, vcc, s0, v0
	v_addc_co_u32_e32 v1, vcc, v2, v1, vcc
	v_add_co_u32_e32 v0, vcc, v0, v3
	v_addc_co_u32_e32 v1, vcc, v1, v4, vcc
	s_waitcnt vmcnt(2)
	v_add_f32_e32 v2, v5, v10
	s_waitcnt vmcnt(1)
	v_add_f32_e32 v2, v2, v8
	;; [unrolled: 2-line block ×3, first 2 shown]
	global_store_dword v[0:1], v2, off
.LBB54_4:
	s_endpgm
	.section	.rodata,"a",@progbits
	.p2align	6, 0x0
	.amdhsa_kernel _ZL19k_bin_bcast_unravelIXadL_ZL6op_addffEE6__halfffJPKfS2_S2_EEvPKT0_PKT1_PT2_15HIP_vector_typeIjLj3EESC_SC_jSC_SC_SC_SC_SC_SC_iiiiiiiiiiiDpT3_
		.amdhsa_group_segment_fixed_size 0
		.amdhsa_private_segment_fixed_size 0
		.amdhsa_kernarg_size 464
		.amdhsa_user_sgpr_count 6
		.amdhsa_user_sgpr_private_segment_buffer 1
		.amdhsa_user_sgpr_dispatch_ptr 0
		.amdhsa_user_sgpr_queue_ptr 0
		.amdhsa_user_sgpr_kernarg_segment_ptr 1
		.amdhsa_user_sgpr_dispatch_id 0
		.amdhsa_user_sgpr_flat_scratch_init 0
		.amdhsa_user_sgpr_private_segment_size 0
		.amdhsa_uses_dynamic_stack 0
		.amdhsa_system_sgpr_private_segment_wavefront_offset 0
		.amdhsa_system_sgpr_workgroup_id_x 1
		.amdhsa_system_sgpr_workgroup_id_y 0
		.amdhsa_system_sgpr_workgroup_id_z 0
		.amdhsa_system_sgpr_workgroup_info 0
		.amdhsa_system_vgpr_workitem_id 0
		.amdhsa_next_free_vgpr 12
		.amdhsa_next_free_sgpr 28
		.amdhsa_reserve_vcc 1
		.amdhsa_reserve_flat_scratch 0
		.amdhsa_float_round_mode_32 0
		.amdhsa_float_round_mode_16_64 0
		.amdhsa_float_denorm_mode_32 3
		.amdhsa_float_denorm_mode_16_64 3
		.amdhsa_dx10_clamp 1
		.amdhsa_ieee_mode 1
		.amdhsa_fp16_overflow 0
		.amdhsa_exception_fp_ieee_invalid_op 0
		.amdhsa_exception_fp_denorm_src 0
		.amdhsa_exception_fp_ieee_div_zero 0
		.amdhsa_exception_fp_ieee_overflow 0
		.amdhsa_exception_fp_ieee_underflow 0
		.amdhsa_exception_fp_ieee_inexact 0
		.amdhsa_exception_int_div_zero 0
	.end_amdhsa_kernel
	.section	.text._ZL19k_bin_bcast_unravelIXadL_ZL6op_addffEE6__halfffJPKfS2_S2_EEvPKT0_PKT1_PT2_15HIP_vector_typeIjLj3EESC_SC_jSC_SC_SC_SC_SC_SC_iiiiiiiiiiiDpT3_,"axG",@progbits,_ZL19k_bin_bcast_unravelIXadL_ZL6op_addffEE6__halfffJPKfS2_S2_EEvPKT0_PKT1_PT2_15HIP_vector_typeIjLj3EESC_SC_jSC_SC_SC_SC_SC_SC_iiiiiiiiiiiDpT3_,comdat
.Lfunc_end54:
	.size	_ZL19k_bin_bcast_unravelIXadL_ZL6op_addffEE6__halfffJPKfS2_S2_EEvPKT0_PKT1_PT2_15HIP_vector_typeIjLj3EESC_SC_jSC_SC_SC_SC_SC_SC_iiiiiiiiiiiDpT3_, .Lfunc_end54-_ZL19k_bin_bcast_unravelIXadL_ZL6op_addffEE6__halfffJPKfS2_S2_EEvPKT0_PKT1_PT2_15HIP_vector_typeIjLj3EESC_SC_jSC_SC_SC_SC_SC_SC_iiiiiiiiiiiDpT3_
                                        ; -- End function
	.set _ZL19k_bin_bcast_unravelIXadL_ZL6op_addffEE6__halfffJPKfS2_S2_EEvPKT0_PKT1_PT2_15HIP_vector_typeIjLj3EESC_SC_jSC_SC_SC_SC_SC_SC_iiiiiiiiiiiDpT3_.num_vgpr, 12
	.set _ZL19k_bin_bcast_unravelIXadL_ZL6op_addffEE6__halfffJPKfS2_S2_EEvPKT0_PKT1_PT2_15HIP_vector_typeIjLj3EESC_SC_jSC_SC_SC_SC_SC_SC_iiiiiiiiiiiDpT3_.num_agpr, 0
	.set _ZL19k_bin_bcast_unravelIXadL_ZL6op_addffEE6__halfffJPKfS2_S2_EEvPKT0_PKT1_PT2_15HIP_vector_typeIjLj3EESC_SC_jSC_SC_SC_SC_SC_SC_iiiiiiiiiiiDpT3_.numbered_sgpr, 28
	.set _ZL19k_bin_bcast_unravelIXadL_ZL6op_addffEE6__halfffJPKfS2_S2_EEvPKT0_PKT1_PT2_15HIP_vector_typeIjLj3EESC_SC_jSC_SC_SC_SC_SC_SC_iiiiiiiiiiiDpT3_.num_named_barrier, 0
	.set _ZL19k_bin_bcast_unravelIXadL_ZL6op_addffEE6__halfffJPKfS2_S2_EEvPKT0_PKT1_PT2_15HIP_vector_typeIjLj3EESC_SC_jSC_SC_SC_SC_SC_SC_iiiiiiiiiiiDpT3_.private_seg_size, 0
	.set _ZL19k_bin_bcast_unravelIXadL_ZL6op_addffEE6__halfffJPKfS2_S2_EEvPKT0_PKT1_PT2_15HIP_vector_typeIjLj3EESC_SC_jSC_SC_SC_SC_SC_SC_iiiiiiiiiiiDpT3_.uses_vcc, 1
	.set _ZL19k_bin_bcast_unravelIXadL_ZL6op_addffEE6__halfffJPKfS2_S2_EEvPKT0_PKT1_PT2_15HIP_vector_typeIjLj3EESC_SC_jSC_SC_SC_SC_SC_SC_iiiiiiiiiiiDpT3_.uses_flat_scratch, 0
	.set _ZL19k_bin_bcast_unravelIXadL_ZL6op_addffEE6__halfffJPKfS2_S2_EEvPKT0_PKT1_PT2_15HIP_vector_typeIjLj3EESC_SC_jSC_SC_SC_SC_SC_SC_iiiiiiiiiiiDpT3_.has_dyn_sized_stack, 0
	.set _ZL19k_bin_bcast_unravelIXadL_ZL6op_addffEE6__halfffJPKfS2_S2_EEvPKT0_PKT1_PT2_15HIP_vector_typeIjLj3EESC_SC_jSC_SC_SC_SC_SC_SC_iiiiiiiiiiiDpT3_.has_recursion, 0
	.set _ZL19k_bin_bcast_unravelIXadL_ZL6op_addffEE6__halfffJPKfS2_S2_EEvPKT0_PKT1_PT2_15HIP_vector_typeIjLj3EESC_SC_jSC_SC_SC_SC_SC_SC_iiiiiiiiiiiDpT3_.has_indirect_call, 0
	.section	.AMDGPU.csdata,"",@progbits
; Kernel info:
; codeLenInByte = 720
; TotalNumSgprs: 32
; NumVgprs: 12
; ScratchSize: 0
; MemoryBound: 0
; FloatMode: 240
; IeeeMode: 1
; LDSByteSize: 0 bytes/workgroup (compile time only)
; SGPRBlocks: 3
; VGPRBlocks: 2
; NumSGPRsForWavesPerEU: 32
; NumVGPRsForWavesPerEU: 12
; Occupancy: 10
; WaveLimiterHint : 1
; COMPUTE_PGM_RSRC2:SCRATCH_EN: 0
; COMPUTE_PGM_RSRC2:USER_SGPR: 6
; COMPUTE_PGM_RSRC2:TRAP_HANDLER: 0
; COMPUTE_PGM_RSRC2:TGID_X_EN: 1
; COMPUTE_PGM_RSRC2:TGID_Y_EN: 0
; COMPUTE_PGM_RSRC2:TGID_Z_EN: 0
; COMPUTE_PGM_RSRC2:TIDIG_COMP_CNT: 0
	.section	.text._ZL11k_bin_bcastIXadL_ZL6op_addffEE6__halfffJPKfS2_S2_EEvPKT0_PKT1_PT2_iii15HIP_vector_typeIjLj3EESC_SC_SC_SC_iiiiiiiiiiiDpT3_,"axG",@progbits,_ZL11k_bin_bcastIXadL_ZL6op_addffEE6__halfffJPKfS2_S2_EEvPKT0_PKT1_PT2_iii15HIP_vector_typeIjLj3EESC_SC_SC_SC_iiiiiiiiiiiDpT3_,comdat
	.globl	_ZL11k_bin_bcastIXadL_ZL6op_addffEE6__halfffJPKfS2_S2_EEvPKT0_PKT1_PT2_iii15HIP_vector_typeIjLj3EESC_SC_SC_SC_iiiiiiiiiiiDpT3_ ; -- Begin function _ZL11k_bin_bcastIXadL_ZL6op_addffEE6__halfffJPKfS2_S2_EEvPKT0_PKT1_PT2_iii15HIP_vector_typeIjLj3EESC_SC_SC_SC_iiiiiiiiiiiDpT3_
	.p2align	8
	.type	_ZL11k_bin_bcastIXadL_ZL6op_addffEE6__halfffJPKfS2_S2_EEvPKT0_PKT1_PT2_iii15HIP_vector_typeIjLj3EESC_SC_SC_SC_iiiiiiiiiiiDpT3_,@function
_ZL11k_bin_bcastIXadL_ZL6op_addffEE6__halfffJPKfS2_S2_EEvPKT0_PKT1_PT2_iii15HIP_vector_typeIjLj3EESC_SC_SC_SC_iiiiiiiiiiiDpT3_: ; @_ZL11k_bin_bcastIXadL_ZL6op_addffEE6__halfffJPKfS2_S2_EEvPKT0_PKT1_PT2_iii15HIP_vector_typeIjLj3EESC_SC_SC_SC_iiiiiiiiiiiDpT3_
; %bb.0:
	s_load_dwordx2 s[0:1], s[4:5], 0xb4
	s_load_dwordx8 s[12:19], s[4:5], 0x18
	s_add_u32 s2, s4, 0xa8
	s_addc_u32 s3, s5, 0
	s_waitcnt lgkmcnt(0)
	s_and_b32 s1, s1, 0xffff
	s_mul_i32 s8, s8, s1
	v_add_u32_e32 v3, s8, v2
	v_mul_hi_u32 v2, v3, s15
	s_lshr_b32 s1, s0, 16
	s_and_b32 s8, s0, 0xffff
	s_mul_i32 s6, s6, s8
	v_add_u32_e32 v2, v3, v2
	v_lshrrev_b32_e32 v2, s16, v2
	v_mul_lo_u32 v4, v2, s17
	s_mul_i32 s7, s7, s1
	v_add_u32_e32 v0, s6, v0
	v_add_u32_e32 v1, s7, v1
	v_cmp_gt_u32_e32 vcc, s12, v0
	v_cmp_gt_u32_e64 s[0:1], s13, v1
	v_sub_u32_e32 v3, v3, v4
	s_and_b64 s[0:1], vcc, s[0:1]
	v_cmp_gt_u32_e32 vcc, s14, v2
	s_and_b64 s[0:1], s[0:1], vcc
	v_cmp_gt_u32_e32 vcc, s17, v3
	s_and_b64 s[0:1], s[0:1], vcc
	s_and_saveexec_b64 s[6:7], s[0:1]
	s_cbranch_execz .LBB55_6
; %bb.1:
	v_cmp_gt_i32_e32 vcc, s12, v0
	s_and_b64 exec, exec, vcc
	s_cbranch_execz .LBB55_6
; %bb.2:
	s_load_dwordx8 s[44:51], s[4:5], 0x3c
	s_load_dwordx8 s[20:27], s[4:5], 0x60
	;; [unrolled: 1-line block ×3, first 2 shown]
	s_load_dword s9, s[2:3], 0x0
	s_load_dword s0, s[4:5], 0x5c
	s_waitcnt lgkmcnt(0)
	v_mul_hi_u32 v4, s44, v1
	v_mul_hi_u32 v5, s47, v2
	;; [unrolled: 1-line block ×3, first 2 shown]
	v_mul_lo_u32 v7, v3, s26
	v_add_u32_e32 v4, v1, v4
	v_add_u32_e32 v5, v2, v5
	;; [unrolled: 1-line block ×3, first 2 shown]
	v_lshrrev_b32_e32 v4, s45, v4
	v_lshrrev_b32_e32 v5, s48, v5
	;; [unrolled: 1-line block ×3, first 2 shown]
	v_mul_lo_u32 v4, v4, s46
	v_mul_lo_u32 v5, v5, s49
	;; [unrolled: 1-line block ×5, first 2 shown]
	v_sub_u32_e32 v4, v1, v4
	v_sub_u32_e32 v5, v2, v5
	;; [unrolled: 1-line block ×3, first 2 shown]
	s_load_dword s10, s[4:5], 0x38
	s_load_dwordx2 s[0:1], s[4:5], 0x0
	s_load_dwordx2 s[2:3], s[4:5], 0x10
	v_mul_lo_u32 v6, v6, s38
	v_mul_lo_u32 v5, v5, s37
	;; [unrolled: 1-line block ×6, first 2 shown]
	v_add3_u32 v1, v8, v9, v7
	v_mov_b32_e32 v2, 0
	v_mov_b32_e32 v8, v2
	v_lshlrev_b64 v[1:2], 1, v[1:2]
	v_add3_u32 v4, v5, v6, v4
	v_add3_u32 v7, v10, v11, v3
	s_waitcnt lgkmcnt(0)
	v_mov_b32_e32 v3, s1
	v_add_co_u32_e32 v5, vcc, s0, v1
	v_addc_co_u32_e32 v6, vcc, v3, v2, vcc
	v_lshlrev_b64 v[1:2], 2, v[7:8]
	s_load_dwordx2 s[4:5], s[4:5], 0xa0
	v_mov_b32_e32 v3, s3
	v_add_co_u32_e32 v7, vcc, s2, v1
	v_addc_co_u32_e32 v8, vcc, v3, v2, vcc
	s_cmp_lg_u64 s[0:1], 0
	v_mul_lo_u32 v2, s23, v0
	s_cselect_b64 s[0:1], -1, 0
	s_mul_i32 s8, s9, s8
	v_cndmask_b32_e64 v1, 0, 1, s[0:1]
	s_mov_b64 s[6:7], 0
	s_mul_i32 s9, s8, s23
	s_sub_i32 s10, 0, s10
	v_cmp_ne_u32_e64 s[0:1], 1, v1
	v_mov_b32_e32 v9, s41
	v_mov_b32_e32 v10, s43
	s_waitcnt lgkmcnt(0)
	v_mov_b32_e32 v11, s5
	s_branch .LBB55_4
.LBB55_3:                               ;   in Loop: Header=BB55_4 Depth=1
	v_mul_hi_u32 v1, s18, v0
	v_add_u32_e32 v2, s9, v2
	v_add_u32_e32 v1, v0, v1
	v_lshrrev_b32_e32 v1, s19, v1
	v_mad_u64_u32 v[12:13], s[2:3], s10, v1, v[0:1]
	v_mul_lo_u32 v1, v12, s27
	v_add_co_u32_e32 v12, vcc, v1, v4
	v_addc_co_u32_e64 v13, s[2:3], 0, 0, vcc
	v_lshlrev_b64 v[12:13], 2, v[12:13]
	v_ashrrev_i32_e32 v1, 31, v0
	v_add_co_u32_e32 v14, vcc, s40, v12
	v_addc_co_u32_e32 v15, vcc, v9, v13, vcc
	global_load_dword v16, v[14:15], off
	v_add_co_u32_e32 v14, vcc, s42, v12
	v_addc_co_u32_e32 v15, vcc, v10, v13, vcc
	v_add_co_u32_e32 v12, vcc, s4, v12
	global_load_dword v14, v[14:15], off
	v_addc_co_u32_e32 v13, vcc, v11, v13, vcc
	global_load_dword v15, v[12:13], off
	v_lshlrev_b64 v[12:13], 2, v[0:1]
	v_add_u32_e32 v0, s8, v0
	v_cmp_le_i32_e32 vcc, s12, v0
	v_add_co_u32_e64 v12, s[2:3], v7, v12
	v_addc_co_u32_e64 v13, s[2:3], v8, v13, s[2:3]
	s_or_b64 s[6:7], vcc, s[6:7]
	s_waitcnt vmcnt(2)
	v_add_f32_e32 v1, v3, v16
	s_waitcnt vmcnt(1)
	v_add_f32_e32 v1, v1, v14
	;; [unrolled: 2-line block ×3, first 2 shown]
	global_store_dword v[12:13], v1, off
	s_andn2_b64 exec, exec, s[6:7]
	s_cbranch_execz .LBB55_6
.LBB55_4:                               ; =>This Inner Loop Header: Depth=1
	s_and_b64 vcc, exec, s[0:1]
	v_mov_b32_e32 v3, 0
	s_cbranch_vccnz .LBB55_3
; %bb.5:                                ;   in Loop: Header=BB55_4 Depth=1
	v_ashrrev_i32_e32 v3, 31, v2
	v_lshlrev_b64 v[12:13], 1, v[2:3]
	v_add_co_u32_e32 v12, vcc, v5, v12
	v_addc_co_u32_e32 v13, vcc, v6, v13, vcc
	global_load_ushort v1, v[12:13], off
	s_waitcnt vmcnt(0)
	v_cvt_f32_f16_e32 v3, v1
	s_branch .LBB55_3
.LBB55_6:
	s_endpgm
	.section	.rodata,"a",@progbits
	.p2align	6, 0x0
	.amdhsa_kernel _ZL11k_bin_bcastIXadL_ZL6op_addffEE6__halfffJPKfS2_S2_EEvPKT0_PKT1_PT2_iii15HIP_vector_typeIjLj3EESC_SC_SC_SC_iiiiiiiiiiiDpT3_
		.amdhsa_group_segment_fixed_size 0
		.amdhsa_private_segment_fixed_size 0
		.amdhsa_kernarg_size 424
		.amdhsa_user_sgpr_count 6
		.amdhsa_user_sgpr_private_segment_buffer 1
		.amdhsa_user_sgpr_dispatch_ptr 0
		.amdhsa_user_sgpr_queue_ptr 0
		.amdhsa_user_sgpr_kernarg_segment_ptr 1
		.amdhsa_user_sgpr_dispatch_id 0
		.amdhsa_user_sgpr_flat_scratch_init 0
		.amdhsa_user_sgpr_private_segment_size 0
		.amdhsa_uses_dynamic_stack 0
		.amdhsa_system_sgpr_private_segment_wavefront_offset 0
		.amdhsa_system_sgpr_workgroup_id_x 1
		.amdhsa_system_sgpr_workgroup_id_y 1
		.amdhsa_system_sgpr_workgroup_id_z 1
		.amdhsa_system_sgpr_workgroup_info 0
		.amdhsa_system_vgpr_workitem_id 2
		.amdhsa_next_free_vgpr 17
		.amdhsa_next_free_sgpr 52
		.amdhsa_reserve_vcc 1
		.amdhsa_reserve_flat_scratch 0
		.amdhsa_float_round_mode_32 0
		.amdhsa_float_round_mode_16_64 0
		.amdhsa_float_denorm_mode_32 3
		.amdhsa_float_denorm_mode_16_64 3
		.amdhsa_dx10_clamp 1
		.amdhsa_ieee_mode 1
		.amdhsa_fp16_overflow 0
		.amdhsa_exception_fp_ieee_invalid_op 0
		.amdhsa_exception_fp_denorm_src 0
		.amdhsa_exception_fp_ieee_div_zero 0
		.amdhsa_exception_fp_ieee_overflow 0
		.amdhsa_exception_fp_ieee_underflow 0
		.amdhsa_exception_fp_ieee_inexact 0
		.amdhsa_exception_int_div_zero 0
	.end_amdhsa_kernel
	.section	.text._ZL11k_bin_bcastIXadL_ZL6op_addffEE6__halfffJPKfS2_S2_EEvPKT0_PKT1_PT2_iii15HIP_vector_typeIjLj3EESC_SC_SC_SC_iiiiiiiiiiiDpT3_,"axG",@progbits,_ZL11k_bin_bcastIXadL_ZL6op_addffEE6__halfffJPKfS2_S2_EEvPKT0_PKT1_PT2_iii15HIP_vector_typeIjLj3EESC_SC_SC_SC_iiiiiiiiiiiDpT3_,comdat
.Lfunc_end55:
	.size	_ZL11k_bin_bcastIXadL_ZL6op_addffEE6__halfffJPKfS2_S2_EEvPKT0_PKT1_PT2_iii15HIP_vector_typeIjLj3EESC_SC_SC_SC_iiiiiiiiiiiDpT3_, .Lfunc_end55-_ZL11k_bin_bcastIXadL_ZL6op_addffEE6__halfffJPKfS2_S2_EEvPKT0_PKT1_PT2_iii15HIP_vector_typeIjLj3EESC_SC_SC_SC_iiiiiiiiiiiDpT3_
                                        ; -- End function
	.set _ZL11k_bin_bcastIXadL_ZL6op_addffEE6__halfffJPKfS2_S2_EEvPKT0_PKT1_PT2_iii15HIP_vector_typeIjLj3EESC_SC_SC_SC_iiiiiiiiiiiDpT3_.num_vgpr, 17
	.set _ZL11k_bin_bcastIXadL_ZL6op_addffEE6__halfffJPKfS2_S2_EEvPKT0_PKT1_PT2_iii15HIP_vector_typeIjLj3EESC_SC_SC_SC_iiiiiiiiiiiDpT3_.num_agpr, 0
	.set _ZL11k_bin_bcastIXadL_ZL6op_addffEE6__halfffJPKfS2_S2_EEvPKT0_PKT1_PT2_iii15HIP_vector_typeIjLj3EESC_SC_SC_SC_iiiiiiiiiiiDpT3_.numbered_sgpr, 52
	.set _ZL11k_bin_bcastIXadL_ZL6op_addffEE6__halfffJPKfS2_S2_EEvPKT0_PKT1_PT2_iii15HIP_vector_typeIjLj3EESC_SC_SC_SC_iiiiiiiiiiiDpT3_.num_named_barrier, 0
	.set _ZL11k_bin_bcastIXadL_ZL6op_addffEE6__halfffJPKfS2_S2_EEvPKT0_PKT1_PT2_iii15HIP_vector_typeIjLj3EESC_SC_SC_SC_iiiiiiiiiiiDpT3_.private_seg_size, 0
	.set _ZL11k_bin_bcastIXadL_ZL6op_addffEE6__halfffJPKfS2_S2_EEvPKT0_PKT1_PT2_iii15HIP_vector_typeIjLj3EESC_SC_SC_SC_iiiiiiiiiiiDpT3_.uses_vcc, 1
	.set _ZL11k_bin_bcastIXadL_ZL6op_addffEE6__halfffJPKfS2_S2_EEvPKT0_PKT1_PT2_iii15HIP_vector_typeIjLj3EESC_SC_SC_SC_iiiiiiiiiiiDpT3_.uses_flat_scratch, 0
	.set _ZL11k_bin_bcastIXadL_ZL6op_addffEE6__halfffJPKfS2_S2_EEvPKT0_PKT1_PT2_iii15HIP_vector_typeIjLj3EESC_SC_SC_SC_iiiiiiiiiiiDpT3_.has_dyn_sized_stack, 0
	.set _ZL11k_bin_bcastIXadL_ZL6op_addffEE6__halfffJPKfS2_S2_EEvPKT0_PKT1_PT2_iii15HIP_vector_typeIjLj3EESC_SC_SC_SC_iiiiiiiiiiiDpT3_.has_recursion, 0
	.set _ZL11k_bin_bcastIXadL_ZL6op_addffEE6__halfffJPKfS2_S2_EEvPKT0_PKT1_PT2_iii15HIP_vector_typeIjLj3EESC_SC_SC_SC_iiiiiiiiiiiDpT3_.has_indirect_call, 0
	.section	.AMDGPU.csdata,"",@progbits
; Kernel info:
; codeLenInByte = 772
; TotalNumSgprs: 56
; NumVgprs: 17
; ScratchSize: 0
; MemoryBound: 0
; FloatMode: 240
; IeeeMode: 1
; LDSByteSize: 0 bytes/workgroup (compile time only)
; SGPRBlocks: 6
; VGPRBlocks: 4
; NumSGPRsForWavesPerEU: 56
; NumVGPRsForWavesPerEU: 17
; Occupancy: 10
; WaveLimiterHint : 1
; COMPUTE_PGM_RSRC2:SCRATCH_EN: 0
; COMPUTE_PGM_RSRC2:USER_SGPR: 6
; COMPUTE_PGM_RSRC2:TRAP_HANDLER: 0
; COMPUTE_PGM_RSRC2:TGID_X_EN: 1
; COMPUTE_PGM_RSRC2:TGID_Y_EN: 1
; COMPUTE_PGM_RSRC2:TGID_Z_EN: 1
; COMPUTE_PGM_RSRC2:TIDIG_COMP_CNT: 2
	.section	.text._ZL19k_bin_bcast_unravelIXadL_ZL6op_addffEEfffJPKfS1_S1_S1_EEvPKT0_PKT1_PT2_15HIP_vector_typeIjLj3EESB_SB_jSB_SB_SB_SB_SB_SB_iiiiiiiiiiiDpT3_,"axG",@progbits,_ZL19k_bin_bcast_unravelIXadL_ZL6op_addffEEfffJPKfS1_S1_S1_EEvPKT0_PKT1_PT2_15HIP_vector_typeIjLj3EESB_SB_jSB_SB_SB_SB_SB_SB_iiiiiiiiiiiDpT3_,comdat
	.globl	_ZL19k_bin_bcast_unravelIXadL_ZL6op_addffEEfffJPKfS1_S1_S1_EEvPKT0_PKT1_PT2_15HIP_vector_typeIjLj3EESB_SB_jSB_SB_SB_SB_SB_SB_iiiiiiiiiiiDpT3_ ; -- Begin function _ZL19k_bin_bcast_unravelIXadL_ZL6op_addffEEfffJPKfS1_S1_S1_EEvPKT0_PKT1_PT2_15HIP_vector_typeIjLj3EESB_SB_jSB_SB_SB_SB_SB_SB_iiiiiiiiiiiDpT3_
	.p2align	8
	.type	_ZL19k_bin_bcast_unravelIXadL_ZL6op_addffEEfffJPKfS1_S1_S1_EEvPKT0_PKT1_PT2_15HIP_vector_typeIjLj3EESB_SB_jSB_SB_SB_SB_SB_SB_iiiiiiiiiiiDpT3_,@function
_ZL19k_bin_bcast_unravelIXadL_ZL6op_addffEEfffJPKfS1_S1_S1_EEvPKT0_PKT1_PT2_15HIP_vector_typeIjLj3EESB_SB_jSB_SB_SB_SB_SB_SB_iiiiiiiiiiiDpT3_: ; @_ZL19k_bin_bcast_unravelIXadL_ZL6op_addffEEfffJPKfS1_S1_S1_EEvPKT0_PKT1_PT2_15HIP_vector_typeIjLj3EESB_SB_jSB_SB_SB_SB_SB_SB_iiiiiiiiiiiDpT3_
; %bb.0:
	s_load_dword s0, s[4:5], 0xe4
	s_load_dwordx8 s[8:15], s[4:5], 0x38
	s_waitcnt lgkmcnt(0)
	s_and_b32 s0, s0, 0xffff
	s_mul_i32 s6, s6, s0
	v_add_u32_e32 v0, s6, v0
	v_mul_hi_u32 v1, v0, s10
	s_load_dwordx4 s[0:3], s[4:5], 0x18
	s_waitcnt lgkmcnt(0)
	s_load_dword s3, s[4:5], 0x2c
	v_add_u32_e32 v1, v0, v1
	v_lshrrev_b32_e32 v1, s11, v1
	v_mul_lo_u32 v2, v1, s12
	v_sub_u32_e32 v0, v0, v2
	v_mul_hi_u32 v2, v0, s13
	v_add_u32_e32 v2, v0, v2
	v_lshrrev_b32_e32 v3, s14, v2
	v_mul_lo_u32 v2, v3, s15
	v_cmp_gt_u32_e32 vcc, s8, v3
	v_sub_u32_e32 v0, v0, v2
	v_mul_hi_u32 v2, v0, s0
	v_add_u32_e32 v2, v0, v2
	v_lshrrev_b32_e32 v4, s1, v2
	v_mul_lo_u32 v2, v4, s2
	s_waitcnt lgkmcnt(0)
	v_cmp_gt_u32_e64 s[0:1], s3, v4
	v_sub_u32_e32 v0, v0, v2
	v_cmp_gt_u32_e64 s[2:3], s2, v0
	s_and_b64 s[0:1], s[2:3], s[0:1]
	s_and_b64 s[0:1], s[0:1], vcc
	v_cmp_gt_u32_e32 vcc, s9, v1
	s_and_b64 s[0:1], vcc, s[0:1]
	s_and_saveexec_b64 s[2:3], s[0:1]
	s_cbranch_execz .LBB56_4
; %bb.1:
	s_load_dwordx2 s[6:7], s[4:5], 0x0
	s_load_dwordx4 s[0:3], s[4:5], 0xa8
	s_load_dwordx8 s[8:15], s[4:5], 0x88
	s_load_dwordx4 s[24:27], s[4:5], 0x78
	s_load_dwordx8 s[16:23], s[4:5], 0x58
	v_mov_b32_e32 v2, 0
	s_waitcnt lgkmcnt(0)
	s_cmp_eq_u64 s[6:7], 0
	v_mov_b32_e32 v5, 0
	s_cbranch_scc1 .LBB56_3
; %bb.2:
	v_mul_lo_u32 v5, v1, s14
	v_mul_lo_u32 v7, v3, s13
	;; [unrolled: 1-line block ×3, first 2 shown]
	v_mov_b32_e32 v6, 0
	v_mov_b32_e32 v9, s7
	v_add3_u32 v5, v7, v5, v8
	v_lshlrev_b64 v[7:8], 2, v[5:6]
	v_mul_lo_u32 v5, v0, s11
	v_add_co_u32_e32 v7, vcc, s6, v7
	v_addc_co_u32_e32 v8, vcc, v9, v8, vcc
	v_lshlrev_b64 v[5:6], 2, v[5:6]
	v_add_co_u32_e32 v5, vcc, v7, v5
	v_addc_co_u32_e32 v6, vcc, v8, v6, vcc
	global_load_dword v5, v[5:6], off
.LBB56_3:
	v_mul_hi_u32 v6, s19, v4
	v_mul_hi_u32 v7, s22, v3
	;; [unrolled: 1-line block ×4, first 2 shown]
	v_add_u32_e32 v6, v4, v6
	v_add_u32_e32 v7, v3, v7
	;; [unrolled: 1-line block ×3, first 2 shown]
	v_lshrrev_b32_e32 v6, s20, v6
	v_lshrrev_b32_e32 v7, s23, v7
	;; [unrolled: 1-line block ×3, first 2 shown]
	v_add_u32_e32 v9, v0, v9
	v_mul_lo_u32 v6, v6, s21
	v_mul_lo_u32 v7, v7, s24
	;; [unrolled: 1-line block ×3, first 2 shown]
	v_lshrrev_b32_e32 v9, s17, v9
	v_mul_lo_u32 v9, v9, s18
	v_sub_u32_e32 v6, v4, v6
	v_sub_u32_e32 v7, v3, v7
	;; [unrolled: 1-line block ×3, first 2 shown]
	v_mul_lo_u32 v8, v8, s2
	v_mul_lo_u32 v7, v7, s1
	;; [unrolled: 1-line block ×3, first 2 shown]
	v_sub_u32_e32 v9, v0, v9
	v_mul_lo_u32 v9, v9, s15
	s_load_dwordx8 s[12:19], s[4:5], 0xb8
	v_add3_u32 v6, v7, v8, v6
	v_ashrrev_i32_e32 v7, 31, v6
	v_ashrrev_i32_e32 v8, 31, v9
	v_add_co_u32_e32 v6, vcc, v9, v6
	v_addc_co_u32_e32 v7, vcc, v8, v7, vcc
	v_lshlrev_b64 v[6:7], 2, v[6:7]
	s_waitcnt lgkmcnt(0)
	v_mov_b32_e32 v9, s13
	v_add_co_u32_e32 v8, vcc, s12, v6
	v_addc_co_u32_e32 v9, vcc, v9, v7, vcc
	global_load_dword v10, v[8:9], off
	v_mov_b32_e32 v9, s15
	v_add_co_u32_e32 v8, vcc, s14, v6
	v_addc_co_u32_e32 v9, vcc, v9, v7, vcc
	global_load_dword v11, v[8:9], off
	;; [unrolled: 4-line block ×4, first 2 shown]
	v_mul_lo_u32 v7, v1, s10
	v_mul_lo_u32 v9, v3, s9
	;; [unrolled: 1-line block ×3, first 2 shown]
	s_load_dwordx2 s[0:1], s[4:5], 0x10
	v_mov_b32_e32 v1, v2
	v_lshlrev_b64 v[3:4], 2, v[0:1]
	v_add3_u32 v1, v9, v7, v12
	v_lshlrev_b64 v[0:1], 2, v[1:2]
	s_waitcnt lgkmcnt(0)
	v_mov_b32_e32 v2, s1
	v_add_co_u32_e32 v0, vcc, s0, v0
	v_addc_co_u32_e32 v1, vcc, v2, v1, vcc
	v_add_co_u32_e32 v0, vcc, v0, v3
	v_addc_co_u32_e32 v1, vcc, v1, v4, vcc
	s_waitcnt vmcnt(3)
	v_add_f32_e32 v2, v5, v10
	s_waitcnt vmcnt(2)
	v_add_f32_e32 v2, v2, v11
	;; [unrolled: 2-line block ×4, first 2 shown]
	global_store_dword v[0:1], v2, off
.LBB56_4:
	s_endpgm
	.section	.rodata,"a",@progbits
	.p2align	6, 0x0
	.amdhsa_kernel _ZL19k_bin_bcast_unravelIXadL_ZL6op_addffEEfffJPKfS1_S1_S1_EEvPKT0_PKT1_PT2_15HIP_vector_typeIjLj3EESB_SB_jSB_SB_SB_SB_SB_SB_iiiiiiiiiiiDpT3_
		.amdhsa_group_segment_fixed_size 0
		.amdhsa_private_segment_fixed_size 0
		.amdhsa_kernarg_size 472
		.amdhsa_user_sgpr_count 6
		.amdhsa_user_sgpr_private_segment_buffer 1
		.amdhsa_user_sgpr_dispatch_ptr 0
		.amdhsa_user_sgpr_queue_ptr 0
		.amdhsa_user_sgpr_kernarg_segment_ptr 1
		.amdhsa_user_sgpr_dispatch_id 0
		.amdhsa_user_sgpr_flat_scratch_init 0
		.amdhsa_user_sgpr_private_segment_size 0
		.amdhsa_uses_dynamic_stack 0
		.amdhsa_system_sgpr_private_segment_wavefront_offset 0
		.amdhsa_system_sgpr_workgroup_id_x 1
		.amdhsa_system_sgpr_workgroup_id_y 0
		.amdhsa_system_sgpr_workgroup_id_z 0
		.amdhsa_system_sgpr_workgroup_info 0
		.amdhsa_system_vgpr_workitem_id 0
		.amdhsa_next_free_vgpr 13
		.amdhsa_next_free_sgpr 28
		.amdhsa_reserve_vcc 1
		.amdhsa_reserve_flat_scratch 0
		.amdhsa_float_round_mode_32 0
		.amdhsa_float_round_mode_16_64 0
		.amdhsa_float_denorm_mode_32 3
		.amdhsa_float_denorm_mode_16_64 3
		.amdhsa_dx10_clamp 1
		.amdhsa_ieee_mode 1
		.amdhsa_fp16_overflow 0
		.amdhsa_exception_fp_ieee_invalid_op 0
		.amdhsa_exception_fp_denorm_src 0
		.amdhsa_exception_fp_ieee_div_zero 0
		.amdhsa_exception_fp_ieee_overflow 0
		.amdhsa_exception_fp_ieee_underflow 0
		.amdhsa_exception_fp_ieee_inexact 0
		.amdhsa_exception_int_div_zero 0
	.end_amdhsa_kernel
	.section	.text._ZL19k_bin_bcast_unravelIXadL_ZL6op_addffEEfffJPKfS1_S1_S1_EEvPKT0_PKT1_PT2_15HIP_vector_typeIjLj3EESB_SB_jSB_SB_SB_SB_SB_SB_iiiiiiiiiiiDpT3_,"axG",@progbits,_ZL19k_bin_bcast_unravelIXadL_ZL6op_addffEEfffJPKfS1_S1_S1_EEvPKT0_PKT1_PT2_15HIP_vector_typeIjLj3EESB_SB_jSB_SB_SB_SB_SB_SB_iiiiiiiiiiiDpT3_,comdat
.Lfunc_end56:
	.size	_ZL19k_bin_bcast_unravelIXadL_ZL6op_addffEEfffJPKfS1_S1_S1_EEvPKT0_PKT1_PT2_15HIP_vector_typeIjLj3EESB_SB_jSB_SB_SB_SB_SB_SB_iiiiiiiiiiiDpT3_, .Lfunc_end56-_ZL19k_bin_bcast_unravelIXadL_ZL6op_addffEEfffJPKfS1_S1_S1_EEvPKT0_PKT1_PT2_15HIP_vector_typeIjLj3EESB_SB_jSB_SB_SB_SB_SB_SB_iiiiiiiiiiiDpT3_
                                        ; -- End function
	.set _ZL19k_bin_bcast_unravelIXadL_ZL6op_addffEEfffJPKfS1_S1_S1_EEvPKT0_PKT1_PT2_15HIP_vector_typeIjLj3EESB_SB_jSB_SB_SB_SB_SB_SB_iiiiiiiiiiiDpT3_.num_vgpr, 13
	.set _ZL19k_bin_bcast_unravelIXadL_ZL6op_addffEEfffJPKfS1_S1_S1_EEvPKT0_PKT1_PT2_15HIP_vector_typeIjLj3EESB_SB_jSB_SB_SB_SB_SB_SB_iiiiiiiiiiiDpT3_.num_agpr, 0
	.set _ZL19k_bin_bcast_unravelIXadL_ZL6op_addffEEfffJPKfS1_S1_S1_EEvPKT0_PKT1_PT2_15HIP_vector_typeIjLj3EESB_SB_jSB_SB_SB_SB_SB_SB_iiiiiiiiiiiDpT3_.numbered_sgpr, 28
	.set _ZL19k_bin_bcast_unravelIXadL_ZL6op_addffEEfffJPKfS1_S1_S1_EEvPKT0_PKT1_PT2_15HIP_vector_typeIjLj3EESB_SB_jSB_SB_SB_SB_SB_SB_iiiiiiiiiiiDpT3_.num_named_barrier, 0
	.set _ZL19k_bin_bcast_unravelIXadL_ZL6op_addffEEfffJPKfS1_S1_S1_EEvPKT0_PKT1_PT2_15HIP_vector_typeIjLj3EESB_SB_jSB_SB_SB_SB_SB_SB_iiiiiiiiiiiDpT3_.private_seg_size, 0
	.set _ZL19k_bin_bcast_unravelIXadL_ZL6op_addffEEfffJPKfS1_S1_S1_EEvPKT0_PKT1_PT2_15HIP_vector_typeIjLj3EESB_SB_jSB_SB_SB_SB_SB_SB_iiiiiiiiiiiDpT3_.uses_vcc, 1
	.set _ZL19k_bin_bcast_unravelIXadL_ZL6op_addffEEfffJPKfS1_S1_S1_EEvPKT0_PKT1_PT2_15HIP_vector_typeIjLj3EESB_SB_jSB_SB_SB_SB_SB_SB_iiiiiiiiiiiDpT3_.uses_flat_scratch, 0
	.set _ZL19k_bin_bcast_unravelIXadL_ZL6op_addffEEfffJPKfS1_S1_S1_EEvPKT0_PKT1_PT2_15HIP_vector_typeIjLj3EESB_SB_jSB_SB_SB_SB_SB_SB_iiiiiiiiiiiDpT3_.has_dyn_sized_stack, 0
	.set _ZL19k_bin_bcast_unravelIXadL_ZL6op_addffEEfffJPKfS1_S1_S1_EEvPKT0_PKT1_PT2_15HIP_vector_typeIjLj3EESB_SB_jSB_SB_SB_SB_SB_SB_iiiiiiiiiiiDpT3_.has_recursion, 0
	.set _ZL19k_bin_bcast_unravelIXadL_ZL6op_addffEEfffJPKfS1_S1_S1_EEvPKT0_PKT1_PT2_15HIP_vector_typeIjLj3EESB_SB_jSB_SB_SB_SB_SB_SB_iiiiiiiiiiiDpT3_.has_indirect_call, 0
	.section	.AMDGPU.csdata,"",@progbits
; Kernel info:
; codeLenInByte = 732
; TotalNumSgprs: 32
; NumVgprs: 13
; ScratchSize: 0
; MemoryBound: 0
; FloatMode: 240
; IeeeMode: 1
; LDSByteSize: 0 bytes/workgroup (compile time only)
; SGPRBlocks: 3
; VGPRBlocks: 3
; NumSGPRsForWavesPerEU: 32
; NumVGPRsForWavesPerEU: 13
; Occupancy: 10
; WaveLimiterHint : 1
; COMPUTE_PGM_RSRC2:SCRATCH_EN: 0
; COMPUTE_PGM_RSRC2:USER_SGPR: 6
; COMPUTE_PGM_RSRC2:TRAP_HANDLER: 0
; COMPUTE_PGM_RSRC2:TGID_X_EN: 1
; COMPUTE_PGM_RSRC2:TGID_Y_EN: 0
; COMPUTE_PGM_RSRC2:TGID_Z_EN: 0
; COMPUTE_PGM_RSRC2:TIDIG_COMP_CNT: 0
	.section	.text._ZL11k_bin_bcastIXadL_ZL6op_addffEEfffJPKfS1_S1_S1_EEvPKT0_PKT1_PT2_iii15HIP_vector_typeIjLj3EESB_SB_SB_SB_iiiiiiiiiiiDpT3_,"axG",@progbits,_ZL11k_bin_bcastIXadL_ZL6op_addffEEfffJPKfS1_S1_S1_EEvPKT0_PKT1_PT2_iii15HIP_vector_typeIjLj3EESB_SB_SB_SB_iiiiiiiiiiiDpT3_,comdat
	.globl	_ZL11k_bin_bcastIXadL_ZL6op_addffEEfffJPKfS1_S1_S1_EEvPKT0_PKT1_PT2_iii15HIP_vector_typeIjLj3EESB_SB_SB_SB_iiiiiiiiiiiDpT3_ ; -- Begin function _ZL11k_bin_bcastIXadL_ZL6op_addffEEfffJPKfS1_S1_S1_EEvPKT0_PKT1_PT2_iii15HIP_vector_typeIjLj3EESB_SB_SB_SB_iiiiiiiiiiiDpT3_
	.p2align	8
	.type	_ZL11k_bin_bcastIXadL_ZL6op_addffEEfffJPKfS1_S1_S1_EEvPKT0_PKT1_PT2_iii15HIP_vector_typeIjLj3EESB_SB_SB_SB_iiiiiiiiiiiDpT3_,@function
_ZL11k_bin_bcastIXadL_ZL6op_addffEEfffJPKfS1_S1_S1_EEvPKT0_PKT1_PT2_iii15HIP_vector_typeIjLj3EESB_SB_SB_SB_iiiiiiiiiiiDpT3_: ; @_ZL11k_bin_bcastIXadL_ZL6op_addffEEfffJPKfS1_S1_S1_EEvPKT0_PKT1_PT2_iii15HIP_vector_typeIjLj3EESB_SB_SB_SB_iiiiiiiiiiiDpT3_
; %bb.0:
	s_load_dwordx2 s[0:1], s[4:5], 0xbc
	s_load_dwordx8 s[12:19], s[4:5], 0x18
	s_add_u32 s2, s4, 0xb0
	s_addc_u32 s3, s5, 0
	s_waitcnt lgkmcnt(0)
	s_and_b32 s1, s1, 0xffff
	s_mul_i32 s8, s8, s1
	v_add_u32_e32 v3, s8, v2
	v_mul_hi_u32 v2, v3, s15
	s_lshr_b32 s1, s0, 16
	s_and_b32 s8, s0, 0xffff
	s_mul_i32 s6, s6, s8
	v_add_u32_e32 v2, v3, v2
	v_lshrrev_b32_e32 v2, s16, v2
	v_mul_lo_u32 v4, v2, s17
	s_mul_i32 s7, s7, s1
	v_add_u32_e32 v0, s6, v0
	v_add_u32_e32 v1, s7, v1
	v_cmp_gt_u32_e32 vcc, s12, v0
	v_cmp_gt_u32_e64 s[0:1], s13, v1
	v_sub_u32_e32 v3, v3, v4
	s_and_b64 s[0:1], vcc, s[0:1]
	v_cmp_gt_u32_e32 vcc, s14, v2
	s_and_b64 s[0:1], s[0:1], vcc
	v_cmp_gt_u32_e32 vcc, s17, v3
	s_and_b64 s[0:1], s[0:1], vcc
	s_and_saveexec_b64 s[6:7], s[0:1]
	s_cbranch_execz .LBB57_6
; %bb.1:
	v_cmp_gt_i32_e32 vcc, s12, v0
	s_and_b64 exec, exec, vcc
	s_cbranch_execz .LBB57_6
; %bb.2:
	s_load_dwordx8 s[36:43], s[4:5], 0x3c
	s_load_dwordx8 s[20:27], s[4:5], 0x60
	s_load_dwordx4 s[28:31], s[4:5], 0x80
	s_load_dword s6, s[2:3], 0x0
	s_load_dword s0, s[4:5], 0x5c
	s_waitcnt lgkmcnt(0)
	v_mul_hi_u32 v4, s36, v1
	v_mul_hi_u32 v5, s39, v2
	;; [unrolled: 1-line block ×3, first 2 shown]
	v_mul_lo_u32 v7, v3, s26
	v_add_u32_e32 v4, v1, v4
	v_add_u32_e32 v5, v2, v5
	;; [unrolled: 1-line block ×3, first 2 shown]
	v_lshrrev_b32_e32 v4, s37, v4
	v_lshrrev_b32_e32 v5, s40, v5
	;; [unrolled: 1-line block ×3, first 2 shown]
	v_mul_lo_u32 v4, v4, s38
	v_mul_lo_u32 v5, v5, s41
	;; [unrolled: 1-line block ×5, first 2 shown]
	v_sub_u32_e32 v4, v1, v4
	v_sub_u32_e32 v5, v2, v5
	;; [unrolled: 1-line block ×3, first 2 shown]
	s_load_dword s9, s[4:5], 0x38
	s_load_dwordx2 s[0:1], s[4:5], 0x0
	s_load_dwordx2 s[2:3], s[4:5], 0x10
	v_mul_lo_u32 v6, v6, s30
	v_mul_lo_u32 v5, v5, s29
	;; [unrolled: 1-line block ×6, first 2 shown]
	v_add3_u32 v1, v8, v9, v7
	v_mov_b32_e32 v2, 0
	v_mov_b32_e32 v8, v2
	v_lshlrev_b64 v[1:2], 2, v[1:2]
	v_add3_u32 v4, v5, v6, v4
	v_add3_u32 v7, v10, v11, v3
	s_waitcnt lgkmcnt(0)
	v_mov_b32_e32 v3, s1
	v_add_co_u32_e32 v5, vcc, s0, v1
	v_addc_co_u32_e32 v6, vcc, v3, v2, vcc
	v_lshlrev_b64 v[1:2], 2, v[7:8]
	s_load_dwordx8 s[36:43], s[4:5], 0x90
	v_mov_b32_e32 v3, s3
	v_add_co_u32_e32 v7, vcc, s2, v1
	v_addc_co_u32_e32 v8, vcc, v3, v2, vcc
	s_cmp_lg_u64 s[0:1], 0
	v_mul_lo_u32 v2, s23, v0
	s_cselect_b64 s[0:1], -1, 0
	s_mul_i32 s6, s6, s8
	v_cndmask_b32_e64 v1, 0, 1, s[0:1]
	s_mov_b64 s[4:5], 0
	s_mul_i32 s7, s6, s23
	s_sub_i32 s8, 0, s9
	v_cmp_ne_u32_e64 s[0:1], 1, v1
	s_waitcnt lgkmcnt(0)
	v_mov_b32_e32 v9, s37
	v_mov_b32_e32 v10, s39
	v_mov_b32_e32 v11, s41
	v_mov_b32_e32 v12, s43
	s_branch .LBB57_4
.LBB57_3:                               ;   in Loop: Header=BB57_4 Depth=1
	v_mul_hi_u32 v1, s18, v0
	v_add_u32_e32 v2, s7, v2
	v_add_u32_e32 v1, v0, v1
	v_lshrrev_b32_e32 v1, s19, v1
	v_mad_u64_u32 v[13:14], s[2:3], s8, v1, v[0:1]
	v_mul_lo_u32 v1, v13, s27
	v_add_co_u32_e32 v13, vcc, v1, v4
	v_addc_co_u32_e64 v14, s[2:3], 0, 0, vcc
	v_lshlrev_b64 v[13:14], 2, v[13:14]
	v_ashrrev_i32_e32 v1, 31, v0
	v_add_co_u32_e32 v15, vcc, s36, v13
	v_addc_co_u32_e32 v16, vcc, v9, v14, vcc
	global_load_dword v17, v[15:16], off
	v_add_co_u32_e32 v15, vcc, s38, v13
	v_addc_co_u32_e32 v16, vcc, v10, v14, vcc
	global_load_dword v18, v[15:16], off
	v_add_co_u32_e32 v15, vcc, s40, v13
	v_addc_co_u32_e32 v16, vcc, v11, v14, vcc
	v_add_co_u32_e32 v13, vcc, s42, v13
	global_load_dword v15, v[15:16], off
	v_addc_co_u32_e32 v14, vcc, v12, v14, vcc
	global_load_dword v16, v[13:14], off
	v_lshlrev_b64 v[13:14], 2, v[0:1]
	v_add_u32_e32 v0, s6, v0
	v_cmp_le_i32_e32 vcc, s12, v0
	v_add_co_u32_e64 v13, s[2:3], v7, v13
	v_addc_co_u32_e64 v14, s[2:3], v8, v14, s[2:3]
	s_or_b64 s[4:5], vcc, s[4:5]
	s_waitcnt vmcnt(3)
	v_add_f32_e32 v1, v3, v17
	s_waitcnt vmcnt(2)
	v_add_f32_e32 v1, v1, v18
	;; [unrolled: 2-line block ×4, first 2 shown]
	global_store_dword v[13:14], v1, off
	s_andn2_b64 exec, exec, s[4:5]
	s_cbranch_execz .LBB57_6
.LBB57_4:                               ; =>This Inner Loop Header: Depth=1
	s_and_b64 vcc, exec, s[0:1]
	v_mov_b32_e32 v3, 0
	s_cbranch_vccnz .LBB57_3
; %bb.5:                                ;   in Loop: Header=BB57_4 Depth=1
	v_ashrrev_i32_e32 v3, 31, v2
	v_lshlrev_b64 v[13:14], 2, v[2:3]
	v_add_co_u32_e32 v13, vcc, v5, v13
	v_addc_co_u32_e32 v14, vcc, v6, v14, vcc
	global_load_dword v3, v[13:14], off
	s_branch .LBB57_3
.LBB57_6:
	s_endpgm
	.section	.rodata,"a",@progbits
	.p2align	6, 0x0
	.amdhsa_kernel _ZL11k_bin_bcastIXadL_ZL6op_addffEEfffJPKfS1_S1_S1_EEvPKT0_PKT1_PT2_iii15HIP_vector_typeIjLj3EESB_SB_SB_SB_iiiiiiiiiiiDpT3_
		.amdhsa_group_segment_fixed_size 0
		.amdhsa_private_segment_fixed_size 0
		.amdhsa_kernarg_size 432
		.amdhsa_user_sgpr_count 6
		.amdhsa_user_sgpr_private_segment_buffer 1
		.amdhsa_user_sgpr_dispatch_ptr 0
		.amdhsa_user_sgpr_queue_ptr 0
		.amdhsa_user_sgpr_kernarg_segment_ptr 1
		.amdhsa_user_sgpr_dispatch_id 0
		.amdhsa_user_sgpr_flat_scratch_init 0
		.amdhsa_user_sgpr_private_segment_size 0
		.amdhsa_uses_dynamic_stack 0
		.amdhsa_system_sgpr_private_segment_wavefront_offset 0
		.amdhsa_system_sgpr_workgroup_id_x 1
		.amdhsa_system_sgpr_workgroup_id_y 1
		.amdhsa_system_sgpr_workgroup_id_z 1
		.amdhsa_system_sgpr_workgroup_info 0
		.amdhsa_system_vgpr_workitem_id 2
		.amdhsa_next_free_vgpr 19
		.amdhsa_next_free_sgpr 44
		.amdhsa_reserve_vcc 1
		.amdhsa_reserve_flat_scratch 0
		.amdhsa_float_round_mode_32 0
		.amdhsa_float_round_mode_16_64 0
		.amdhsa_float_denorm_mode_32 3
		.amdhsa_float_denorm_mode_16_64 3
		.amdhsa_dx10_clamp 1
		.amdhsa_ieee_mode 1
		.amdhsa_fp16_overflow 0
		.amdhsa_exception_fp_ieee_invalid_op 0
		.amdhsa_exception_fp_denorm_src 0
		.amdhsa_exception_fp_ieee_div_zero 0
		.amdhsa_exception_fp_ieee_overflow 0
		.amdhsa_exception_fp_ieee_underflow 0
		.amdhsa_exception_fp_ieee_inexact 0
		.amdhsa_exception_int_div_zero 0
	.end_amdhsa_kernel
	.section	.text._ZL11k_bin_bcastIXadL_ZL6op_addffEEfffJPKfS1_S1_S1_EEvPKT0_PKT1_PT2_iii15HIP_vector_typeIjLj3EESB_SB_SB_SB_iiiiiiiiiiiDpT3_,"axG",@progbits,_ZL11k_bin_bcastIXadL_ZL6op_addffEEfffJPKfS1_S1_S1_EEvPKT0_PKT1_PT2_iii15HIP_vector_typeIjLj3EESB_SB_SB_SB_iiiiiiiiiiiDpT3_,comdat
.Lfunc_end57:
	.size	_ZL11k_bin_bcastIXadL_ZL6op_addffEEfffJPKfS1_S1_S1_EEvPKT0_PKT1_PT2_iii15HIP_vector_typeIjLj3EESB_SB_SB_SB_iiiiiiiiiiiDpT3_, .Lfunc_end57-_ZL11k_bin_bcastIXadL_ZL6op_addffEEfffJPKfS1_S1_S1_EEvPKT0_PKT1_PT2_iii15HIP_vector_typeIjLj3EESB_SB_SB_SB_iiiiiiiiiiiDpT3_
                                        ; -- End function
	.set _ZL11k_bin_bcastIXadL_ZL6op_addffEEfffJPKfS1_S1_S1_EEvPKT0_PKT1_PT2_iii15HIP_vector_typeIjLj3EESB_SB_SB_SB_iiiiiiiiiiiDpT3_.num_vgpr, 19
	.set _ZL11k_bin_bcastIXadL_ZL6op_addffEEfffJPKfS1_S1_S1_EEvPKT0_PKT1_PT2_iii15HIP_vector_typeIjLj3EESB_SB_SB_SB_iiiiiiiiiiiDpT3_.num_agpr, 0
	.set _ZL11k_bin_bcastIXadL_ZL6op_addffEEfffJPKfS1_S1_S1_EEvPKT0_PKT1_PT2_iii15HIP_vector_typeIjLj3EESB_SB_SB_SB_iiiiiiiiiiiDpT3_.numbered_sgpr, 44
	.set _ZL11k_bin_bcastIXadL_ZL6op_addffEEfffJPKfS1_S1_S1_EEvPKT0_PKT1_PT2_iii15HIP_vector_typeIjLj3EESB_SB_SB_SB_iiiiiiiiiiiDpT3_.num_named_barrier, 0
	.set _ZL11k_bin_bcastIXadL_ZL6op_addffEEfffJPKfS1_S1_S1_EEvPKT0_PKT1_PT2_iii15HIP_vector_typeIjLj3EESB_SB_SB_SB_iiiiiiiiiiiDpT3_.private_seg_size, 0
	.set _ZL11k_bin_bcastIXadL_ZL6op_addffEEfffJPKfS1_S1_S1_EEvPKT0_PKT1_PT2_iii15HIP_vector_typeIjLj3EESB_SB_SB_SB_iiiiiiiiiiiDpT3_.uses_vcc, 1
	.set _ZL11k_bin_bcastIXadL_ZL6op_addffEEfffJPKfS1_S1_S1_EEvPKT0_PKT1_PT2_iii15HIP_vector_typeIjLj3EESB_SB_SB_SB_iiiiiiiiiiiDpT3_.uses_flat_scratch, 0
	.set _ZL11k_bin_bcastIXadL_ZL6op_addffEEfffJPKfS1_S1_S1_EEvPKT0_PKT1_PT2_iii15HIP_vector_typeIjLj3EESB_SB_SB_SB_iiiiiiiiiiiDpT3_.has_dyn_sized_stack, 0
	.set _ZL11k_bin_bcastIXadL_ZL6op_addffEEfffJPKfS1_S1_S1_EEvPKT0_PKT1_PT2_iii15HIP_vector_typeIjLj3EESB_SB_SB_SB_iiiiiiiiiiiDpT3_.has_recursion, 0
	.set _ZL11k_bin_bcastIXadL_ZL6op_addffEEfffJPKfS1_S1_S1_EEvPKT0_PKT1_PT2_iii15HIP_vector_typeIjLj3EESB_SB_SB_SB_iiiiiiiiiiiDpT3_.has_indirect_call, 0
	.section	.AMDGPU.csdata,"",@progbits
; Kernel info:
; codeLenInByte = 792
; TotalNumSgprs: 48
; NumVgprs: 19
; ScratchSize: 0
; MemoryBound: 0
; FloatMode: 240
; IeeeMode: 1
; LDSByteSize: 0 bytes/workgroup (compile time only)
; SGPRBlocks: 5
; VGPRBlocks: 4
; NumSGPRsForWavesPerEU: 48
; NumVGPRsForWavesPerEU: 19
; Occupancy: 10
; WaveLimiterHint : 1
; COMPUTE_PGM_RSRC2:SCRATCH_EN: 0
; COMPUTE_PGM_RSRC2:USER_SGPR: 6
; COMPUTE_PGM_RSRC2:TRAP_HANDLER: 0
; COMPUTE_PGM_RSRC2:TGID_X_EN: 1
; COMPUTE_PGM_RSRC2:TGID_Y_EN: 1
; COMPUTE_PGM_RSRC2:TGID_Z_EN: 1
; COMPUTE_PGM_RSRC2:TIDIG_COMP_CNT: 2
	.section	.text._ZL19k_bin_bcast_unravelIXadL_ZL6op_addffEE6__halfS0_S0_JPKS0_S2_S2_S2_EEvPKT0_PKT1_PT2_15HIP_vector_typeIjLj3EESC_SC_jSC_SC_SC_SC_SC_SC_iiiiiiiiiiiDpT3_,"axG",@progbits,_ZL19k_bin_bcast_unravelIXadL_ZL6op_addffEE6__halfS0_S0_JPKS0_S2_S2_S2_EEvPKT0_PKT1_PT2_15HIP_vector_typeIjLj3EESC_SC_jSC_SC_SC_SC_SC_SC_iiiiiiiiiiiDpT3_,comdat
	.globl	_ZL19k_bin_bcast_unravelIXadL_ZL6op_addffEE6__halfS0_S0_JPKS0_S2_S2_S2_EEvPKT0_PKT1_PT2_15HIP_vector_typeIjLj3EESC_SC_jSC_SC_SC_SC_SC_SC_iiiiiiiiiiiDpT3_ ; -- Begin function _ZL19k_bin_bcast_unravelIXadL_ZL6op_addffEE6__halfS0_S0_JPKS0_S2_S2_S2_EEvPKT0_PKT1_PT2_15HIP_vector_typeIjLj3EESC_SC_jSC_SC_SC_SC_SC_SC_iiiiiiiiiiiDpT3_
	.p2align	8
	.type	_ZL19k_bin_bcast_unravelIXadL_ZL6op_addffEE6__halfS0_S0_JPKS0_S2_S2_S2_EEvPKT0_PKT1_PT2_15HIP_vector_typeIjLj3EESC_SC_jSC_SC_SC_SC_SC_SC_iiiiiiiiiiiDpT3_,@function
_ZL19k_bin_bcast_unravelIXadL_ZL6op_addffEE6__halfS0_S0_JPKS0_S2_S2_S2_EEvPKT0_PKT1_PT2_15HIP_vector_typeIjLj3EESC_SC_jSC_SC_SC_SC_SC_SC_iiiiiiiiiiiDpT3_: ; @_ZL19k_bin_bcast_unravelIXadL_ZL6op_addffEE6__halfS0_S0_JPKS0_S2_S2_S2_EEvPKT0_PKT1_PT2_15HIP_vector_typeIjLj3EESC_SC_jSC_SC_SC_SC_SC_SC_iiiiiiiiiiiDpT3_
; %bb.0:
	s_load_dword s0, s[4:5], 0xe4
	s_load_dwordx8 s[8:15], s[4:5], 0x38
	s_waitcnt lgkmcnt(0)
	s_and_b32 s0, s0, 0xffff
	s_mul_i32 s6, s6, s0
	v_add_u32_e32 v0, s6, v0
	v_mul_hi_u32 v1, v0, s10
	s_load_dwordx4 s[0:3], s[4:5], 0x18
	s_waitcnt lgkmcnt(0)
	s_load_dword s3, s[4:5], 0x2c
	v_add_u32_e32 v1, v0, v1
	v_lshrrev_b32_e32 v1, s11, v1
	v_mul_lo_u32 v2, v1, s12
	v_sub_u32_e32 v0, v0, v2
	v_mul_hi_u32 v2, v0, s13
	v_add_u32_e32 v2, v0, v2
	v_lshrrev_b32_e32 v3, s14, v2
	v_mul_lo_u32 v2, v3, s15
	v_cmp_gt_u32_e32 vcc, s8, v3
	v_sub_u32_e32 v0, v0, v2
	v_mul_hi_u32 v2, v0, s0
	v_add_u32_e32 v2, v0, v2
	v_lshrrev_b32_e32 v4, s1, v2
	v_mul_lo_u32 v2, v4, s2
	s_waitcnt lgkmcnt(0)
	v_cmp_gt_u32_e64 s[0:1], s3, v4
	v_sub_u32_e32 v0, v0, v2
	v_cmp_gt_u32_e64 s[2:3], s2, v0
	s_and_b64 s[0:1], s[2:3], s[0:1]
	s_and_b64 s[0:1], s[0:1], vcc
	v_cmp_gt_u32_e32 vcc, s9, v1
	s_and_b64 s[0:1], vcc, s[0:1]
	s_and_saveexec_b64 s[2:3], s[0:1]
	s_cbranch_execz .LBB58_4
; %bb.1:
	s_load_dwordx2 s[6:7], s[4:5], 0x0
	s_load_dwordx4 s[0:3], s[4:5], 0xa8
	s_load_dwordx8 s[8:15], s[4:5], 0x88
	s_load_dwordx4 s[24:27], s[4:5], 0x78
	s_load_dwordx8 s[16:23], s[4:5], 0x58
	v_mov_b32_e32 v2, 0
	s_waitcnt lgkmcnt(0)
	s_cmp_eq_u64 s[6:7], 0
	v_mov_b32_e32 v5, 0
	s_cbranch_scc1 .LBB58_3
; %bb.2:
	v_mul_lo_u32 v5, v1, s14
	v_mul_lo_u32 v7, v3, s13
	;; [unrolled: 1-line block ×3, first 2 shown]
	v_mov_b32_e32 v6, 0
	v_mov_b32_e32 v9, s7
	v_add3_u32 v5, v7, v5, v8
	v_lshlrev_b64 v[7:8], 1, v[5:6]
	v_mul_lo_u32 v5, v0, s11
	v_add_co_u32_e32 v7, vcc, s6, v7
	v_addc_co_u32_e32 v8, vcc, v9, v8, vcc
	v_lshlrev_b64 v[5:6], 1, v[5:6]
	v_add_co_u32_e32 v5, vcc, v7, v5
	v_addc_co_u32_e32 v6, vcc, v8, v6, vcc
	global_load_ushort v5, v[5:6], off
	s_waitcnt vmcnt(0)
	v_cvt_f32_f16_e32 v5, v5
.LBB58_3:
	v_mul_hi_u32 v6, s19, v4
	v_mul_hi_u32 v7, s22, v3
	;; [unrolled: 1-line block ×4, first 2 shown]
	v_add_u32_e32 v6, v4, v6
	v_add_u32_e32 v7, v3, v7
	;; [unrolled: 1-line block ×3, first 2 shown]
	v_lshrrev_b32_e32 v6, s20, v6
	v_lshrrev_b32_e32 v7, s23, v7
	;; [unrolled: 1-line block ×3, first 2 shown]
	v_add_u32_e32 v9, v0, v9
	v_mul_lo_u32 v6, v6, s21
	v_mul_lo_u32 v7, v7, s24
	v_mul_lo_u32 v8, v8, s27
	v_lshrrev_b32_e32 v9, s17, v9
	v_mul_lo_u32 v9, v9, s18
	v_sub_u32_e32 v6, v4, v6
	v_sub_u32_e32 v7, v3, v7
	;; [unrolled: 1-line block ×3, first 2 shown]
	v_mul_lo_u32 v8, v8, s2
	v_mul_lo_u32 v7, v7, s1
	;; [unrolled: 1-line block ×3, first 2 shown]
	v_sub_u32_e32 v9, v0, v9
	v_mul_lo_u32 v9, v9, s15
	s_load_dwordx8 s[12:19], s[4:5], 0xb8
	v_add3_u32 v6, v7, v8, v6
	v_ashrrev_i32_e32 v7, 31, v6
	v_ashrrev_i32_e32 v8, 31, v9
	v_add_co_u32_e32 v6, vcc, v9, v6
	v_addc_co_u32_e32 v7, vcc, v8, v7, vcc
	v_lshlrev_b64 v[6:7], 1, v[6:7]
	s_waitcnt lgkmcnt(0)
	v_mov_b32_e32 v9, s13
	v_add_co_u32_e32 v8, vcc, s12, v6
	v_addc_co_u32_e32 v9, vcc, v9, v7, vcc
	global_load_ushort v10, v[8:9], off
	v_mov_b32_e32 v9, s15
	v_add_co_u32_e32 v8, vcc, s14, v6
	v_addc_co_u32_e32 v9, vcc, v9, v7, vcc
	global_load_ushort v11, v[8:9], off
	;; [unrolled: 4-line block ×4, first 2 shown]
	v_mul_lo_u32 v7, v1, s10
	v_mul_lo_u32 v9, v3, s9
	;; [unrolled: 1-line block ×3, first 2 shown]
	s_load_dwordx2 s[0:1], s[4:5], 0x10
	v_mov_b32_e32 v1, v2
	v_lshlrev_b64 v[3:4], 1, v[0:1]
	v_add3_u32 v1, v9, v7, v12
	v_lshlrev_b64 v[0:1], 1, v[1:2]
	s_waitcnt lgkmcnt(0)
	v_mov_b32_e32 v2, s1
	v_add_co_u32_e32 v0, vcc, s0, v0
	v_addc_co_u32_e32 v1, vcc, v2, v1, vcc
	v_add_co_u32_e32 v0, vcc, v0, v3
	v_addc_co_u32_e32 v1, vcc, v1, v4, vcc
	s_waitcnt vmcnt(3)
	v_cvt_f32_f16_e32 v2, v10
	v_add_f32_e32 v2, v5, v2
	s_waitcnt vmcnt(2)
	v_cvt_f32_f16_e32 v7, v11
	v_add_f32_e32 v2, v2, v7
	;; [unrolled: 3-line block ×4, first 2 shown]
	v_cvt_f16_f32_e32 v2, v2
	global_store_short v[0:1], v2, off
.LBB58_4:
	s_endpgm
	.section	.rodata,"a",@progbits
	.p2align	6, 0x0
	.amdhsa_kernel _ZL19k_bin_bcast_unravelIXadL_ZL6op_addffEE6__halfS0_S0_JPKS0_S2_S2_S2_EEvPKT0_PKT1_PT2_15HIP_vector_typeIjLj3EESC_SC_jSC_SC_SC_SC_SC_SC_iiiiiiiiiiiDpT3_
		.amdhsa_group_segment_fixed_size 0
		.amdhsa_private_segment_fixed_size 0
		.amdhsa_kernarg_size 472
		.amdhsa_user_sgpr_count 6
		.amdhsa_user_sgpr_private_segment_buffer 1
		.amdhsa_user_sgpr_dispatch_ptr 0
		.amdhsa_user_sgpr_queue_ptr 0
		.amdhsa_user_sgpr_kernarg_segment_ptr 1
		.amdhsa_user_sgpr_dispatch_id 0
		.amdhsa_user_sgpr_flat_scratch_init 0
		.amdhsa_user_sgpr_private_segment_size 0
		.amdhsa_uses_dynamic_stack 0
		.amdhsa_system_sgpr_private_segment_wavefront_offset 0
		.amdhsa_system_sgpr_workgroup_id_x 1
		.amdhsa_system_sgpr_workgroup_id_y 0
		.amdhsa_system_sgpr_workgroup_id_z 0
		.amdhsa_system_sgpr_workgroup_info 0
		.amdhsa_system_vgpr_workitem_id 0
		.amdhsa_next_free_vgpr 13
		.amdhsa_next_free_sgpr 28
		.amdhsa_reserve_vcc 1
		.amdhsa_reserve_flat_scratch 0
		.amdhsa_float_round_mode_32 0
		.amdhsa_float_round_mode_16_64 0
		.amdhsa_float_denorm_mode_32 3
		.amdhsa_float_denorm_mode_16_64 3
		.amdhsa_dx10_clamp 1
		.amdhsa_ieee_mode 1
		.amdhsa_fp16_overflow 0
		.amdhsa_exception_fp_ieee_invalid_op 0
		.amdhsa_exception_fp_denorm_src 0
		.amdhsa_exception_fp_ieee_div_zero 0
		.amdhsa_exception_fp_ieee_overflow 0
		.amdhsa_exception_fp_ieee_underflow 0
		.amdhsa_exception_fp_ieee_inexact 0
		.amdhsa_exception_int_div_zero 0
	.end_amdhsa_kernel
	.section	.text._ZL19k_bin_bcast_unravelIXadL_ZL6op_addffEE6__halfS0_S0_JPKS0_S2_S2_S2_EEvPKT0_PKT1_PT2_15HIP_vector_typeIjLj3EESC_SC_jSC_SC_SC_SC_SC_SC_iiiiiiiiiiiDpT3_,"axG",@progbits,_ZL19k_bin_bcast_unravelIXadL_ZL6op_addffEE6__halfS0_S0_JPKS0_S2_S2_S2_EEvPKT0_PKT1_PT2_15HIP_vector_typeIjLj3EESC_SC_jSC_SC_SC_SC_SC_SC_iiiiiiiiiiiDpT3_,comdat
.Lfunc_end58:
	.size	_ZL19k_bin_bcast_unravelIXadL_ZL6op_addffEE6__halfS0_S0_JPKS0_S2_S2_S2_EEvPKT0_PKT1_PT2_15HIP_vector_typeIjLj3EESC_SC_jSC_SC_SC_SC_SC_SC_iiiiiiiiiiiDpT3_, .Lfunc_end58-_ZL19k_bin_bcast_unravelIXadL_ZL6op_addffEE6__halfS0_S0_JPKS0_S2_S2_S2_EEvPKT0_PKT1_PT2_15HIP_vector_typeIjLj3EESC_SC_jSC_SC_SC_SC_SC_SC_iiiiiiiiiiiDpT3_
                                        ; -- End function
	.set _ZL19k_bin_bcast_unravelIXadL_ZL6op_addffEE6__halfS0_S0_JPKS0_S2_S2_S2_EEvPKT0_PKT1_PT2_15HIP_vector_typeIjLj3EESC_SC_jSC_SC_SC_SC_SC_SC_iiiiiiiiiiiDpT3_.num_vgpr, 13
	.set _ZL19k_bin_bcast_unravelIXadL_ZL6op_addffEE6__halfS0_S0_JPKS0_S2_S2_S2_EEvPKT0_PKT1_PT2_15HIP_vector_typeIjLj3EESC_SC_jSC_SC_SC_SC_SC_SC_iiiiiiiiiiiDpT3_.num_agpr, 0
	.set _ZL19k_bin_bcast_unravelIXadL_ZL6op_addffEE6__halfS0_S0_JPKS0_S2_S2_S2_EEvPKT0_PKT1_PT2_15HIP_vector_typeIjLj3EESC_SC_jSC_SC_SC_SC_SC_SC_iiiiiiiiiiiDpT3_.numbered_sgpr, 28
	.set _ZL19k_bin_bcast_unravelIXadL_ZL6op_addffEE6__halfS0_S0_JPKS0_S2_S2_S2_EEvPKT0_PKT1_PT2_15HIP_vector_typeIjLj3EESC_SC_jSC_SC_SC_SC_SC_SC_iiiiiiiiiiiDpT3_.num_named_barrier, 0
	.set _ZL19k_bin_bcast_unravelIXadL_ZL6op_addffEE6__halfS0_S0_JPKS0_S2_S2_S2_EEvPKT0_PKT1_PT2_15HIP_vector_typeIjLj3EESC_SC_jSC_SC_SC_SC_SC_SC_iiiiiiiiiiiDpT3_.private_seg_size, 0
	.set _ZL19k_bin_bcast_unravelIXadL_ZL6op_addffEE6__halfS0_S0_JPKS0_S2_S2_S2_EEvPKT0_PKT1_PT2_15HIP_vector_typeIjLj3EESC_SC_jSC_SC_SC_SC_SC_SC_iiiiiiiiiiiDpT3_.uses_vcc, 1
	.set _ZL19k_bin_bcast_unravelIXadL_ZL6op_addffEE6__halfS0_S0_JPKS0_S2_S2_S2_EEvPKT0_PKT1_PT2_15HIP_vector_typeIjLj3EESC_SC_jSC_SC_SC_SC_SC_SC_iiiiiiiiiiiDpT3_.uses_flat_scratch, 0
	.set _ZL19k_bin_bcast_unravelIXadL_ZL6op_addffEE6__halfS0_S0_JPKS0_S2_S2_S2_EEvPKT0_PKT1_PT2_15HIP_vector_typeIjLj3EESC_SC_jSC_SC_SC_SC_SC_SC_iiiiiiiiiiiDpT3_.has_dyn_sized_stack, 0
	.set _ZL19k_bin_bcast_unravelIXadL_ZL6op_addffEE6__halfS0_S0_JPKS0_S2_S2_S2_EEvPKT0_PKT1_PT2_15HIP_vector_typeIjLj3EESC_SC_jSC_SC_SC_SC_SC_SC_iiiiiiiiiiiDpT3_.has_recursion, 0
	.set _ZL19k_bin_bcast_unravelIXadL_ZL6op_addffEE6__halfS0_S0_JPKS0_S2_S2_S2_EEvPKT0_PKT1_PT2_15HIP_vector_typeIjLj3EESC_SC_jSC_SC_SC_SC_SC_SC_iiiiiiiiiiiDpT3_.has_indirect_call, 0
	.section	.AMDGPU.csdata,"",@progbits
; Kernel info:
; codeLenInByte = 760
; TotalNumSgprs: 32
; NumVgprs: 13
; ScratchSize: 0
; MemoryBound: 0
; FloatMode: 240
; IeeeMode: 1
; LDSByteSize: 0 bytes/workgroup (compile time only)
; SGPRBlocks: 3
; VGPRBlocks: 3
; NumSGPRsForWavesPerEU: 32
; NumVGPRsForWavesPerEU: 13
; Occupancy: 10
; WaveLimiterHint : 1
; COMPUTE_PGM_RSRC2:SCRATCH_EN: 0
; COMPUTE_PGM_RSRC2:USER_SGPR: 6
; COMPUTE_PGM_RSRC2:TRAP_HANDLER: 0
; COMPUTE_PGM_RSRC2:TGID_X_EN: 1
; COMPUTE_PGM_RSRC2:TGID_Y_EN: 0
; COMPUTE_PGM_RSRC2:TGID_Z_EN: 0
; COMPUTE_PGM_RSRC2:TIDIG_COMP_CNT: 0
	.section	.text._ZL11k_bin_bcastIXadL_ZL6op_addffEE6__halfS0_S0_JPKS0_S2_S2_S2_EEvPKT0_PKT1_PT2_iii15HIP_vector_typeIjLj3EESC_SC_SC_SC_iiiiiiiiiiiDpT3_,"axG",@progbits,_ZL11k_bin_bcastIXadL_ZL6op_addffEE6__halfS0_S0_JPKS0_S2_S2_S2_EEvPKT0_PKT1_PT2_iii15HIP_vector_typeIjLj3EESC_SC_SC_SC_iiiiiiiiiiiDpT3_,comdat
	.globl	_ZL11k_bin_bcastIXadL_ZL6op_addffEE6__halfS0_S0_JPKS0_S2_S2_S2_EEvPKT0_PKT1_PT2_iii15HIP_vector_typeIjLj3EESC_SC_SC_SC_iiiiiiiiiiiDpT3_ ; -- Begin function _ZL11k_bin_bcastIXadL_ZL6op_addffEE6__halfS0_S0_JPKS0_S2_S2_S2_EEvPKT0_PKT1_PT2_iii15HIP_vector_typeIjLj3EESC_SC_SC_SC_iiiiiiiiiiiDpT3_
	.p2align	8
	.type	_ZL11k_bin_bcastIXadL_ZL6op_addffEE6__halfS0_S0_JPKS0_S2_S2_S2_EEvPKT0_PKT1_PT2_iii15HIP_vector_typeIjLj3EESC_SC_SC_SC_iiiiiiiiiiiDpT3_,@function
_ZL11k_bin_bcastIXadL_ZL6op_addffEE6__halfS0_S0_JPKS0_S2_S2_S2_EEvPKT0_PKT1_PT2_iii15HIP_vector_typeIjLj3EESC_SC_SC_SC_iiiiiiiiiiiDpT3_: ; @_ZL11k_bin_bcastIXadL_ZL6op_addffEE6__halfS0_S0_JPKS0_S2_S2_S2_EEvPKT0_PKT1_PT2_iii15HIP_vector_typeIjLj3EESC_SC_SC_SC_iiiiiiiiiiiDpT3_
; %bb.0:
	s_load_dwordx2 s[0:1], s[4:5], 0xbc
	s_load_dwordx8 s[12:19], s[4:5], 0x18
	s_add_u32 s2, s4, 0xb0
	s_addc_u32 s3, s5, 0
	s_waitcnt lgkmcnt(0)
	s_and_b32 s1, s1, 0xffff
	s_mul_i32 s8, s8, s1
	v_add_u32_e32 v3, s8, v2
	v_mul_hi_u32 v2, v3, s15
	s_lshr_b32 s1, s0, 16
	s_and_b32 s8, s0, 0xffff
	s_mul_i32 s6, s6, s8
	v_add_u32_e32 v2, v3, v2
	v_lshrrev_b32_e32 v2, s16, v2
	v_mul_lo_u32 v4, v2, s17
	s_mul_i32 s7, s7, s1
	v_add_u32_e32 v0, s6, v0
	v_add_u32_e32 v1, s7, v1
	v_cmp_gt_u32_e32 vcc, s12, v0
	v_cmp_gt_u32_e64 s[0:1], s13, v1
	v_sub_u32_e32 v3, v3, v4
	s_and_b64 s[0:1], vcc, s[0:1]
	v_cmp_gt_u32_e32 vcc, s14, v2
	s_and_b64 s[0:1], s[0:1], vcc
	v_cmp_gt_u32_e32 vcc, s17, v3
	s_and_b64 s[0:1], s[0:1], vcc
	s_and_saveexec_b64 s[6:7], s[0:1]
	s_cbranch_execz .LBB59_6
; %bb.1:
	v_cmp_gt_i32_e32 vcc, s12, v0
	s_and_b64 exec, exec, vcc
	s_cbranch_execz .LBB59_6
; %bb.2:
	s_load_dwordx8 s[36:43], s[4:5], 0x3c
	s_load_dwordx8 s[20:27], s[4:5], 0x60
	s_load_dwordx4 s[28:31], s[4:5], 0x80
	s_load_dword s6, s[2:3], 0x0
	s_load_dword s0, s[4:5], 0x5c
	s_waitcnt lgkmcnt(0)
	v_mul_hi_u32 v4, s36, v1
	v_mul_hi_u32 v5, s39, v2
	;; [unrolled: 1-line block ×3, first 2 shown]
	v_mul_lo_u32 v7, v3, s26
	v_add_u32_e32 v4, v1, v4
	v_add_u32_e32 v5, v2, v5
	;; [unrolled: 1-line block ×3, first 2 shown]
	v_lshrrev_b32_e32 v4, s37, v4
	v_lshrrev_b32_e32 v5, s40, v5
	;; [unrolled: 1-line block ×3, first 2 shown]
	v_mul_lo_u32 v4, v4, s38
	v_mul_lo_u32 v5, v5, s41
	;; [unrolled: 1-line block ×5, first 2 shown]
	v_sub_u32_e32 v4, v1, v4
	v_sub_u32_e32 v5, v2, v5
	;; [unrolled: 1-line block ×3, first 2 shown]
	s_load_dword s9, s[4:5], 0x38
	s_load_dwordx2 s[0:1], s[4:5], 0x0
	s_load_dwordx2 s[2:3], s[4:5], 0x10
	v_mul_lo_u32 v6, v6, s30
	v_mul_lo_u32 v5, v5, s29
	;; [unrolled: 1-line block ×6, first 2 shown]
	v_add3_u32 v1, v8, v9, v7
	v_mov_b32_e32 v2, 0
	v_mov_b32_e32 v8, v2
	v_lshlrev_b64 v[1:2], 1, v[1:2]
	v_add3_u32 v4, v5, v6, v4
	v_add3_u32 v7, v10, v11, v3
	s_waitcnt lgkmcnt(0)
	v_mov_b32_e32 v3, s1
	v_add_co_u32_e32 v5, vcc, s0, v1
	v_addc_co_u32_e32 v6, vcc, v3, v2, vcc
	v_lshlrev_b64 v[1:2], 1, v[7:8]
	s_load_dwordx8 s[36:43], s[4:5], 0x90
	v_mov_b32_e32 v3, s3
	v_add_co_u32_e32 v7, vcc, s2, v1
	v_addc_co_u32_e32 v8, vcc, v3, v2, vcc
	s_cmp_lg_u64 s[0:1], 0
	v_mul_lo_u32 v2, s23, v0
	s_cselect_b64 s[0:1], -1, 0
	s_mul_i32 s6, s6, s8
	v_cndmask_b32_e64 v1, 0, 1, s[0:1]
	s_mov_b64 s[4:5], 0
	s_mul_i32 s7, s6, s23
	s_sub_i32 s8, 0, s9
	v_cmp_ne_u32_e64 s[0:1], 1, v1
	s_waitcnt lgkmcnt(0)
	v_mov_b32_e32 v9, s37
	v_mov_b32_e32 v10, s39
	;; [unrolled: 1-line block ×4, first 2 shown]
	s_branch .LBB59_4
.LBB59_3:                               ;   in Loop: Header=BB59_4 Depth=1
	v_mul_hi_u32 v1, s18, v0
	v_add_u32_e32 v2, s7, v2
	v_add_u32_e32 v1, v0, v1
	v_lshrrev_b32_e32 v1, s19, v1
	v_mad_u64_u32 v[13:14], s[2:3], s8, v1, v[0:1]
	v_mul_lo_u32 v1, v13, s27
	v_add_co_u32_e32 v13, vcc, v1, v4
	v_addc_co_u32_e64 v14, s[2:3], 0, 0, vcc
	v_lshlrev_b64 v[13:14], 1, v[13:14]
	v_ashrrev_i32_e32 v1, 31, v0
	v_add_co_u32_e32 v15, vcc, s36, v13
	v_addc_co_u32_e32 v16, vcc, v9, v14, vcc
	global_load_ushort v17, v[15:16], off
	v_add_co_u32_e32 v15, vcc, s38, v13
	v_addc_co_u32_e32 v16, vcc, v10, v14, vcc
	global_load_ushort v18, v[15:16], off
	v_add_co_u32_e32 v15, vcc, s40, v13
	v_addc_co_u32_e32 v16, vcc, v11, v14, vcc
	v_add_co_u32_e32 v13, vcc, s42, v13
	global_load_ushort v15, v[15:16], off
	v_addc_co_u32_e32 v14, vcc, v12, v14, vcc
	global_load_ushort v16, v[13:14], off
	v_lshlrev_b64 v[13:14], 1, v[0:1]
	v_add_u32_e32 v0, s6, v0
	v_cmp_le_i32_e32 vcc, s12, v0
	v_add_co_u32_e64 v13, s[2:3], v7, v13
	v_addc_co_u32_e64 v14, s[2:3], v8, v14, s[2:3]
	s_or_b64 s[4:5], vcc, s[4:5]
	s_waitcnt vmcnt(3)
	v_cvt_f32_f16_e32 v1, v17
	v_add_f32_e32 v1, v3, v1
	s_waitcnt vmcnt(2)
	v_cvt_f32_f16_e32 v17, v18
	v_add_f32_e32 v1, v1, v17
	s_waitcnt vmcnt(1)
	v_cvt_f32_f16_e32 v15, v15
	s_waitcnt vmcnt(0)
	v_cvt_f32_f16_e32 v16, v16
	v_add_f32_e32 v1, v1, v15
	v_add_f32_e32 v1, v1, v16
	v_cvt_f16_f32_e32 v1, v1
	global_store_short v[13:14], v1, off
	s_andn2_b64 exec, exec, s[4:5]
	s_cbranch_execz .LBB59_6
.LBB59_4:                               ; =>This Inner Loop Header: Depth=1
	s_and_b64 vcc, exec, s[0:1]
	v_mov_b32_e32 v3, 0
	s_cbranch_vccnz .LBB59_3
; %bb.5:                                ;   in Loop: Header=BB59_4 Depth=1
	v_ashrrev_i32_e32 v3, 31, v2
	v_lshlrev_b64 v[13:14], 1, v[2:3]
	v_add_co_u32_e32 v13, vcc, v5, v13
	v_addc_co_u32_e32 v14, vcc, v6, v14, vcc
	global_load_ushort v1, v[13:14], off
	s_waitcnt vmcnt(0)
	v_cvt_f32_f16_e32 v3, v1
	s_branch .LBB59_3
.LBB59_6:
	s_endpgm
	.section	.rodata,"a",@progbits
	.p2align	6, 0x0
	.amdhsa_kernel _ZL11k_bin_bcastIXadL_ZL6op_addffEE6__halfS0_S0_JPKS0_S2_S2_S2_EEvPKT0_PKT1_PT2_iii15HIP_vector_typeIjLj3EESC_SC_SC_SC_iiiiiiiiiiiDpT3_
		.amdhsa_group_segment_fixed_size 0
		.amdhsa_private_segment_fixed_size 0
		.amdhsa_kernarg_size 432
		.amdhsa_user_sgpr_count 6
		.amdhsa_user_sgpr_private_segment_buffer 1
		.amdhsa_user_sgpr_dispatch_ptr 0
		.amdhsa_user_sgpr_queue_ptr 0
		.amdhsa_user_sgpr_kernarg_segment_ptr 1
		.amdhsa_user_sgpr_dispatch_id 0
		.amdhsa_user_sgpr_flat_scratch_init 0
		.amdhsa_user_sgpr_private_segment_size 0
		.amdhsa_uses_dynamic_stack 0
		.amdhsa_system_sgpr_private_segment_wavefront_offset 0
		.amdhsa_system_sgpr_workgroup_id_x 1
		.amdhsa_system_sgpr_workgroup_id_y 1
		.amdhsa_system_sgpr_workgroup_id_z 1
		.amdhsa_system_sgpr_workgroup_info 0
		.amdhsa_system_vgpr_workitem_id 2
		.amdhsa_next_free_vgpr 19
		.amdhsa_next_free_sgpr 44
		.amdhsa_reserve_vcc 1
		.amdhsa_reserve_flat_scratch 0
		.amdhsa_float_round_mode_32 0
		.amdhsa_float_round_mode_16_64 0
		.amdhsa_float_denorm_mode_32 3
		.amdhsa_float_denorm_mode_16_64 3
		.amdhsa_dx10_clamp 1
		.amdhsa_ieee_mode 1
		.amdhsa_fp16_overflow 0
		.amdhsa_exception_fp_ieee_invalid_op 0
		.amdhsa_exception_fp_denorm_src 0
		.amdhsa_exception_fp_ieee_div_zero 0
		.amdhsa_exception_fp_ieee_overflow 0
		.amdhsa_exception_fp_ieee_underflow 0
		.amdhsa_exception_fp_ieee_inexact 0
		.amdhsa_exception_int_div_zero 0
	.end_amdhsa_kernel
	.section	.text._ZL11k_bin_bcastIXadL_ZL6op_addffEE6__halfS0_S0_JPKS0_S2_S2_S2_EEvPKT0_PKT1_PT2_iii15HIP_vector_typeIjLj3EESC_SC_SC_SC_iiiiiiiiiiiDpT3_,"axG",@progbits,_ZL11k_bin_bcastIXadL_ZL6op_addffEE6__halfS0_S0_JPKS0_S2_S2_S2_EEvPKT0_PKT1_PT2_iii15HIP_vector_typeIjLj3EESC_SC_SC_SC_iiiiiiiiiiiDpT3_,comdat
.Lfunc_end59:
	.size	_ZL11k_bin_bcastIXadL_ZL6op_addffEE6__halfS0_S0_JPKS0_S2_S2_S2_EEvPKT0_PKT1_PT2_iii15HIP_vector_typeIjLj3EESC_SC_SC_SC_iiiiiiiiiiiDpT3_, .Lfunc_end59-_ZL11k_bin_bcastIXadL_ZL6op_addffEE6__halfS0_S0_JPKS0_S2_S2_S2_EEvPKT0_PKT1_PT2_iii15HIP_vector_typeIjLj3EESC_SC_SC_SC_iiiiiiiiiiiDpT3_
                                        ; -- End function
	.set _ZL11k_bin_bcastIXadL_ZL6op_addffEE6__halfS0_S0_JPKS0_S2_S2_S2_EEvPKT0_PKT1_PT2_iii15HIP_vector_typeIjLj3EESC_SC_SC_SC_iiiiiiiiiiiDpT3_.num_vgpr, 19
	.set _ZL11k_bin_bcastIXadL_ZL6op_addffEE6__halfS0_S0_JPKS0_S2_S2_S2_EEvPKT0_PKT1_PT2_iii15HIP_vector_typeIjLj3EESC_SC_SC_SC_iiiiiiiiiiiDpT3_.num_agpr, 0
	.set _ZL11k_bin_bcastIXadL_ZL6op_addffEE6__halfS0_S0_JPKS0_S2_S2_S2_EEvPKT0_PKT1_PT2_iii15HIP_vector_typeIjLj3EESC_SC_SC_SC_iiiiiiiiiiiDpT3_.numbered_sgpr, 44
	.set _ZL11k_bin_bcastIXadL_ZL6op_addffEE6__halfS0_S0_JPKS0_S2_S2_S2_EEvPKT0_PKT1_PT2_iii15HIP_vector_typeIjLj3EESC_SC_SC_SC_iiiiiiiiiiiDpT3_.num_named_barrier, 0
	.set _ZL11k_bin_bcastIXadL_ZL6op_addffEE6__halfS0_S0_JPKS0_S2_S2_S2_EEvPKT0_PKT1_PT2_iii15HIP_vector_typeIjLj3EESC_SC_SC_SC_iiiiiiiiiiiDpT3_.private_seg_size, 0
	.set _ZL11k_bin_bcastIXadL_ZL6op_addffEE6__halfS0_S0_JPKS0_S2_S2_S2_EEvPKT0_PKT1_PT2_iii15HIP_vector_typeIjLj3EESC_SC_SC_SC_iiiiiiiiiiiDpT3_.uses_vcc, 1
	.set _ZL11k_bin_bcastIXadL_ZL6op_addffEE6__halfS0_S0_JPKS0_S2_S2_S2_EEvPKT0_PKT1_PT2_iii15HIP_vector_typeIjLj3EESC_SC_SC_SC_iiiiiiiiiiiDpT3_.uses_flat_scratch, 0
	.set _ZL11k_bin_bcastIXadL_ZL6op_addffEE6__halfS0_S0_JPKS0_S2_S2_S2_EEvPKT0_PKT1_PT2_iii15HIP_vector_typeIjLj3EESC_SC_SC_SC_iiiiiiiiiiiDpT3_.has_dyn_sized_stack, 0
	.set _ZL11k_bin_bcastIXadL_ZL6op_addffEE6__halfS0_S0_JPKS0_S2_S2_S2_EEvPKT0_PKT1_PT2_iii15HIP_vector_typeIjLj3EESC_SC_SC_SC_iiiiiiiiiiiDpT3_.has_recursion, 0
	.set _ZL11k_bin_bcastIXadL_ZL6op_addffEE6__halfS0_S0_JPKS0_S2_S2_S2_EEvPKT0_PKT1_PT2_iii15HIP_vector_typeIjLj3EESC_SC_SC_SC_iiiiiiiiiiiDpT3_.has_indirect_call, 0
	.section	.AMDGPU.csdata,"",@progbits
; Kernel info:
; codeLenInByte = 820
; TotalNumSgprs: 48
; NumVgprs: 19
; ScratchSize: 0
; MemoryBound: 0
; FloatMode: 240
; IeeeMode: 1
; LDSByteSize: 0 bytes/workgroup (compile time only)
; SGPRBlocks: 5
; VGPRBlocks: 4
; NumSGPRsForWavesPerEU: 48
; NumVGPRsForWavesPerEU: 19
; Occupancy: 10
; WaveLimiterHint : 1
; COMPUTE_PGM_RSRC2:SCRATCH_EN: 0
; COMPUTE_PGM_RSRC2:USER_SGPR: 6
; COMPUTE_PGM_RSRC2:TRAP_HANDLER: 0
; COMPUTE_PGM_RSRC2:TGID_X_EN: 1
; COMPUTE_PGM_RSRC2:TGID_Y_EN: 1
; COMPUTE_PGM_RSRC2:TGID_Z_EN: 1
; COMPUTE_PGM_RSRC2:TIDIG_COMP_CNT: 2
	.section	.text._ZL19k_bin_bcast_unravelIXadL_ZL6op_addffEE6__halffS0_JPKfS2_S2_S2_EEvPKT0_PKT1_PT2_15HIP_vector_typeIjLj3EESC_SC_jSC_SC_SC_SC_SC_SC_iiiiiiiiiiiDpT3_,"axG",@progbits,_ZL19k_bin_bcast_unravelIXadL_ZL6op_addffEE6__halffS0_JPKfS2_S2_S2_EEvPKT0_PKT1_PT2_15HIP_vector_typeIjLj3EESC_SC_jSC_SC_SC_SC_SC_SC_iiiiiiiiiiiDpT3_,comdat
	.globl	_ZL19k_bin_bcast_unravelIXadL_ZL6op_addffEE6__halffS0_JPKfS2_S2_S2_EEvPKT0_PKT1_PT2_15HIP_vector_typeIjLj3EESC_SC_jSC_SC_SC_SC_SC_SC_iiiiiiiiiiiDpT3_ ; -- Begin function _ZL19k_bin_bcast_unravelIXadL_ZL6op_addffEE6__halffS0_JPKfS2_S2_S2_EEvPKT0_PKT1_PT2_15HIP_vector_typeIjLj3EESC_SC_jSC_SC_SC_SC_SC_SC_iiiiiiiiiiiDpT3_
	.p2align	8
	.type	_ZL19k_bin_bcast_unravelIXadL_ZL6op_addffEE6__halffS0_JPKfS2_S2_S2_EEvPKT0_PKT1_PT2_15HIP_vector_typeIjLj3EESC_SC_jSC_SC_SC_SC_SC_SC_iiiiiiiiiiiDpT3_,@function
_ZL19k_bin_bcast_unravelIXadL_ZL6op_addffEE6__halffS0_JPKfS2_S2_S2_EEvPKT0_PKT1_PT2_15HIP_vector_typeIjLj3EESC_SC_jSC_SC_SC_SC_SC_SC_iiiiiiiiiiiDpT3_: ; @_ZL19k_bin_bcast_unravelIXadL_ZL6op_addffEE6__halffS0_JPKfS2_S2_S2_EEvPKT0_PKT1_PT2_15HIP_vector_typeIjLj3EESC_SC_jSC_SC_SC_SC_SC_SC_iiiiiiiiiiiDpT3_
; %bb.0:
	s_load_dword s0, s[4:5], 0xe4
	s_load_dwordx8 s[8:15], s[4:5], 0x38
	s_waitcnt lgkmcnt(0)
	s_and_b32 s0, s0, 0xffff
	s_mul_i32 s6, s6, s0
	v_add_u32_e32 v0, s6, v0
	v_mul_hi_u32 v1, v0, s10
	s_load_dwordx4 s[0:3], s[4:5], 0x18
	s_waitcnt lgkmcnt(0)
	s_load_dword s3, s[4:5], 0x2c
	v_add_u32_e32 v1, v0, v1
	v_lshrrev_b32_e32 v1, s11, v1
	v_mul_lo_u32 v2, v1, s12
	v_sub_u32_e32 v0, v0, v2
	v_mul_hi_u32 v2, v0, s13
	v_add_u32_e32 v2, v0, v2
	v_lshrrev_b32_e32 v3, s14, v2
	v_mul_lo_u32 v2, v3, s15
	v_cmp_gt_u32_e32 vcc, s8, v3
	v_sub_u32_e32 v0, v0, v2
	v_mul_hi_u32 v2, v0, s0
	v_add_u32_e32 v2, v0, v2
	v_lshrrev_b32_e32 v4, s1, v2
	v_mul_lo_u32 v2, v4, s2
	s_waitcnt lgkmcnt(0)
	v_cmp_gt_u32_e64 s[0:1], s3, v4
	v_sub_u32_e32 v0, v0, v2
	v_cmp_gt_u32_e64 s[2:3], s2, v0
	s_and_b64 s[0:1], s[2:3], s[0:1]
	s_and_b64 s[0:1], s[0:1], vcc
	v_cmp_gt_u32_e32 vcc, s9, v1
	s_and_b64 s[0:1], vcc, s[0:1]
	s_and_saveexec_b64 s[2:3], s[0:1]
	s_cbranch_execz .LBB60_4
; %bb.1:
	s_load_dwordx2 s[6:7], s[4:5], 0x0
	s_load_dwordx4 s[0:3], s[4:5], 0xa8
	s_load_dwordx8 s[8:15], s[4:5], 0x88
	s_load_dwordx4 s[24:27], s[4:5], 0x78
	s_load_dwordx8 s[16:23], s[4:5], 0x58
	v_mov_b32_e32 v2, 0
	s_waitcnt lgkmcnt(0)
	s_cmp_eq_u64 s[6:7], 0
	v_mov_b32_e32 v5, 0
	s_cbranch_scc1 .LBB60_3
; %bb.2:
	v_mul_lo_u32 v5, v1, s14
	v_mul_lo_u32 v7, v3, s13
	;; [unrolled: 1-line block ×3, first 2 shown]
	v_mov_b32_e32 v6, 0
	v_mov_b32_e32 v9, s7
	v_add3_u32 v5, v7, v5, v8
	v_lshlrev_b64 v[7:8], 1, v[5:6]
	v_mul_lo_u32 v5, v0, s11
	v_add_co_u32_e32 v7, vcc, s6, v7
	v_addc_co_u32_e32 v8, vcc, v9, v8, vcc
	v_lshlrev_b64 v[5:6], 1, v[5:6]
	v_add_co_u32_e32 v5, vcc, v7, v5
	v_addc_co_u32_e32 v6, vcc, v8, v6, vcc
	global_load_ushort v5, v[5:6], off
	s_waitcnt vmcnt(0)
	v_cvt_f32_f16_e32 v5, v5
.LBB60_3:
	v_mul_hi_u32 v6, s19, v4
	v_mul_hi_u32 v7, s22, v3
	v_mul_hi_u32 v8, s25, v1
	v_mul_hi_u32 v9, s16, v0
	v_add_u32_e32 v6, v4, v6
	v_add_u32_e32 v7, v3, v7
	;; [unrolled: 1-line block ×3, first 2 shown]
	v_lshrrev_b32_e32 v6, s20, v6
	v_lshrrev_b32_e32 v7, s23, v7
	;; [unrolled: 1-line block ×3, first 2 shown]
	v_add_u32_e32 v9, v0, v9
	v_mul_lo_u32 v6, v6, s21
	v_mul_lo_u32 v7, v7, s24
	;; [unrolled: 1-line block ×3, first 2 shown]
	v_lshrrev_b32_e32 v9, s17, v9
	v_mul_lo_u32 v9, v9, s18
	v_sub_u32_e32 v6, v4, v6
	v_sub_u32_e32 v7, v3, v7
	;; [unrolled: 1-line block ×3, first 2 shown]
	v_mul_lo_u32 v8, v8, s2
	v_mul_lo_u32 v7, v7, s1
	v_mul_lo_u32 v6, v6, s0
	v_sub_u32_e32 v9, v0, v9
	v_mul_lo_u32 v9, v9, s15
	s_load_dwordx8 s[12:19], s[4:5], 0xb8
	v_add3_u32 v6, v7, v8, v6
	v_ashrrev_i32_e32 v7, 31, v6
	v_ashrrev_i32_e32 v8, 31, v9
	v_add_co_u32_e32 v6, vcc, v9, v6
	v_addc_co_u32_e32 v7, vcc, v8, v7, vcc
	v_lshlrev_b64 v[6:7], 2, v[6:7]
	s_waitcnt lgkmcnt(0)
	v_mov_b32_e32 v9, s13
	v_add_co_u32_e32 v8, vcc, s12, v6
	v_addc_co_u32_e32 v9, vcc, v9, v7, vcc
	global_load_dword v10, v[8:9], off
	v_mov_b32_e32 v9, s15
	v_add_co_u32_e32 v8, vcc, s14, v6
	v_addc_co_u32_e32 v9, vcc, v9, v7, vcc
	global_load_dword v11, v[8:9], off
	;; [unrolled: 4-line block ×4, first 2 shown]
	v_mul_lo_u32 v7, v1, s10
	v_mul_lo_u32 v9, v3, s9
	;; [unrolled: 1-line block ×3, first 2 shown]
	s_load_dwordx2 s[0:1], s[4:5], 0x10
	v_mov_b32_e32 v1, v2
	v_lshlrev_b64 v[3:4], 1, v[0:1]
	v_add3_u32 v1, v9, v7, v12
	v_lshlrev_b64 v[0:1], 1, v[1:2]
	s_waitcnt lgkmcnt(0)
	v_mov_b32_e32 v2, s1
	v_add_co_u32_e32 v0, vcc, s0, v0
	v_addc_co_u32_e32 v1, vcc, v2, v1, vcc
	v_add_co_u32_e32 v0, vcc, v0, v3
	v_addc_co_u32_e32 v1, vcc, v1, v4, vcc
	s_waitcnt vmcnt(3)
	v_add_f32_e32 v2, v5, v10
	s_waitcnt vmcnt(2)
	v_add_f32_e32 v2, v2, v11
	;; [unrolled: 2-line block ×4, first 2 shown]
	v_cvt_f16_f32_e32 v2, v2
	global_store_short v[0:1], v2, off
.LBB60_4:
	s_endpgm
	.section	.rodata,"a",@progbits
	.p2align	6, 0x0
	.amdhsa_kernel _ZL19k_bin_bcast_unravelIXadL_ZL6op_addffEE6__halffS0_JPKfS2_S2_S2_EEvPKT0_PKT1_PT2_15HIP_vector_typeIjLj3EESC_SC_jSC_SC_SC_SC_SC_SC_iiiiiiiiiiiDpT3_
		.amdhsa_group_segment_fixed_size 0
		.amdhsa_private_segment_fixed_size 0
		.amdhsa_kernarg_size 472
		.amdhsa_user_sgpr_count 6
		.amdhsa_user_sgpr_private_segment_buffer 1
		.amdhsa_user_sgpr_dispatch_ptr 0
		.amdhsa_user_sgpr_queue_ptr 0
		.amdhsa_user_sgpr_kernarg_segment_ptr 1
		.amdhsa_user_sgpr_dispatch_id 0
		.amdhsa_user_sgpr_flat_scratch_init 0
		.amdhsa_user_sgpr_private_segment_size 0
		.amdhsa_uses_dynamic_stack 0
		.amdhsa_system_sgpr_private_segment_wavefront_offset 0
		.amdhsa_system_sgpr_workgroup_id_x 1
		.amdhsa_system_sgpr_workgroup_id_y 0
		.amdhsa_system_sgpr_workgroup_id_z 0
		.amdhsa_system_sgpr_workgroup_info 0
		.amdhsa_system_vgpr_workitem_id 0
		.amdhsa_next_free_vgpr 13
		.amdhsa_next_free_sgpr 28
		.amdhsa_reserve_vcc 1
		.amdhsa_reserve_flat_scratch 0
		.amdhsa_float_round_mode_32 0
		.amdhsa_float_round_mode_16_64 0
		.amdhsa_float_denorm_mode_32 3
		.amdhsa_float_denorm_mode_16_64 3
		.amdhsa_dx10_clamp 1
		.amdhsa_ieee_mode 1
		.amdhsa_fp16_overflow 0
		.amdhsa_exception_fp_ieee_invalid_op 0
		.amdhsa_exception_fp_denorm_src 0
		.amdhsa_exception_fp_ieee_div_zero 0
		.amdhsa_exception_fp_ieee_overflow 0
		.amdhsa_exception_fp_ieee_underflow 0
		.amdhsa_exception_fp_ieee_inexact 0
		.amdhsa_exception_int_div_zero 0
	.end_amdhsa_kernel
	.section	.text._ZL19k_bin_bcast_unravelIXadL_ZL6op_addffEE6__halffS0_JPKfS2_S2_S2_EEvPKT0_PKT1_PT2_15HIP_vector_typeIjLj3EESC_SC_jSC_SC_SC_SC_SC_SC_iiiiiiiiiiiDpT3_,"axG",@progbits,_ZL19k_bin_bcast_unravelIXadL_ZL6op_addffEE6__halffS0_JPKfS2_S2_S2_EEvPKT0_PKT1_PT2_15HIP_vector_typeIjLj3EESC_SC_jSC_SC_SC_SC_SC_SC_iiiiiiiiiiiDpT3_,comdat
.Lfunc_end60:
	.size	_ZL19k_bin_bcast_unravelIXadL_ZL6op_addffEE6__halffS0_JPKfS2_S2_S2_EEvPKT0_PKT1_PT2_15HIP_vector_typeIjLj3EESC_SC_jSC_SC_SC_SC_SC_SC_iiiiiiiiiiiDpT3_, .Lfunc_end60-_ZL19k_bin_bcast_unravelIXadL_ZL6op_addffEE6__halffS0_JPKfS2_S2_S2_EEvPKT0_PKT1_PT2_15HIP_vector_typeIjLj3EESC_SC_jSC_SC_SC_SC_SC_SC_iiiiiiiiiiiDpT3_
                                        ; -- End function
	.set _ZL19k_bin_bcast_unravelIXadL_ZL6op_addffEE6__halffS0_JPKfS2_S2_S2_EEvPKT0_PKT1_PT2_15HIP_vector_typeIjLj3EESC_SC_jSC_SC_SC_SC_SC_SC_iiiiiiiiiiiDpT3_.num_vgpr, 13
	.set _ZL19k_bin_bcast_unravelIXadL_ZL6op_addffEE6__halffS0_JPKfS2_S2_S2_EEvPKT0_PKT1_PT2_15HIP_vector_typeIjLj3EESC_SC_jSC_SC_SC_SC_SC_SC_iiiiiiiiiiiDpT3_.num_agpr, 0
	.set _ZL19k_bin_bcast_unravelIXadL_ZL6op_addffEE6__halffS0_JPKfS2_S2_S2_EEvPKT0_PKT1_PT2_15HIP_vector_typeIjLj3EESC_SC_jSC_SC_SC_SC_SC_SC_iiiiiiiiiiiDpT3_.numbered_sgpr, 28
	.set _ZL19k_bin_bcast_unravelIXadL_ZL6op_addffEE6__halffS0_JPKfS2_S2_S2_EEvPKT0_PKT1_PT2_15HIP_vector_typeIjLj3EESC_SC_jSC_SC_SC_SC_SC_SC_iiiiiiiiiiiDpT3_.num_named_barrier, 0
	.set _ZL19k_bin_bcast_unravelIXadL_ZL6op_addffEE6__halffS0_JPKfS2_S2_S2_EEvPKT0_PKT1_PT2_15HIP_vector_typeIjLj3EESC_SC_jSC_SC_SC_SC_SC_SC_iiiiiiiiiiiDpT3_.private_seg_size, 0
	.set _ZL19k_bin_bcast_unravelIXadL_ZL6op_addffEE6__halffS0_JPKfS2_S2_S2_EEvPKT0_PKT1_PT2_15HIP_vector_typeIjLj3EESC_SC_jSC_SC_SC_SC_SC_SC_iiiiiiiiiiiDpT3_.uses_vcc, 1
	.set _ZL19k_bin_bcast_unravelIXadL_ZL6op_addffEE6__halffS0_JPKfS2_S2_S2_EEvPKT0_PKT1_PT2_15HIP_vector_typeIjLj3EESC_SC_jSC_SC_SC_SC_SC_SC_iiiiiiiiiiiDpT3_.uses_flat_scratch, 0
	.set _ZL19k_bin_bcast_unravelIXadL_ZL6op_addffEE6__halffS0_JPKfS2_S2_S2_EEvPKT0_PKT1_PT2_15HIP_vector_typeIjLj3EESC_SC_jSC_SC_SC_SC_SC_SC_iiiiiiiiiiiDpT3_.has_dyn_sized_stack, 0
	.set _ZL19k_bin_bcast_unravelIXadL_ZL6op_addffEE6__halffS0_JPKfS2_S2_S2_EEvPKT0_PKT1_PT2_15HIP_vector_typeIjLj3EESC_SC_jSC_SC_SC_SC_SC_SC_iiiiiiiiiiiDpT3_.has_recursion, 0
	.set _ZL19k_bin_bcast_unravelIXadL_ZL6op_addffEE6__halffS0_JPKfS2_S2_S2_EEvPKT0_PKT1_PT2_15HIP_vector_typeIjLj3EESC_SC_jSC_SC_SC_SC_SC_SC_iiiiiiiiiiiDpT3_.has_indirect_call, 0
	.section	.AMDGPU.csdata,"",@progbits
; Kernel info:
; codeLenInByte = 744
; TotalNumSgprs: 32
; NumVgprs: 13
; ScratchSize: 0
; MemoryBound: 0
; FloatMode: 240
; IeeeMode: 1
; LDSByteSize: 0 bytes/workgroup (compile time only)
; SGPRBlocks: 3
; VGPRBlocks: 3
; NumSGPRsForWavesPerEU: 32
; NumVGPRsForWavesPerEU: 13
; Occupancy: 10
; WaveLimiterHint : 1
; COMPUTE_PGM_RSRC2:SCRATCH_EN: 0
; COMPUTE_PGM_RSRC2:USER_SGPR: 6
; COMPUTE_PGM_RSRC2:TRAP_HANDLER: 0
; COMPUTE_PGM_RSRC2:TGID_X_EN: 1
; COMPUTE_PGM_RSRC2:TGID_Y_EN: 0
; COMPUTE_PGM_RSRC2:TGID_Z_EN: 0
; COMPUTE_PGM_RSRC2:TIDIG_COMP_CNT: 0
	.section	.text._ZL11k_bin_bcastIXadL_ZL6op_addffEE6__halffS0_JPKfS2_S2_S2_EEvPKT0_PKT1_PT2_iii15HIP_vector_typeIjLj3EESC_SC_SC_SC_iiiiiiiiiiiDpT3_,"axG",@progbits,_ZL11k_bin_bcastIXadL_ZL6op_addffEE6__halffS0_JPKfS2_S2_S2_EEvPKT0_PKT1_PT2_iii15HIP_vector_typeIjLj3EESC_SC_SC_SC_iiiiiiiiiiiDpT3_,comdat
	.globl	_ZL11k_bin_bcastIXadL_ZL6op_addffEE6__halffS0_JPKfS2_S2_S2_EEvPKT0_PKT1_PT2_iii15HIP_vector_typeIjLj3EESC_SC_SC_SC_iiiiiiiiiiiDpT3_ ; -- Begin function _ZL11k_bin_bcastIXadL_ZL6op_addffEE6__halffS0_JPKfS2_S2_S2_EEvPKT0_PKT1_PT2_iii15HIP_vector_typeIjLj3EESC_SC_SC_SC_iiiiiiiiiiiDpT3_
	.p2align	8
	.type	_ZL11k_bin_bcastIXadL_ZL6op_addffEE6__halffS0_JPKfS2_S2_S2_EEvPKT0_PKT1_PT2_iii15HIP_vector_typeIjLj3EESC_SC_SC_SC_iiiiiiiiiiiDpT3_,@function
_ZL11k_bin_bcastIXadL_ZL6op_addffEE6__halffS0_JPKfS2_S2_S2_EEvPKT0_PKT1_PT2_iii15HIP_vector_typeIjLj3EESC_SC_SC_SC_iiiiiiiiiiiDpT3_: ; @_ZL11k_bin_bcastIXadL_ZL6op_addffEE6__halffS0_JPKfS2_S2_S2_EEvPKT0_PKT1_PT2_iii15HIP_vector_typeIjLj3EESC_SC_SC_SC_iiiiiiiiiiiDpT3_
; %bb.0:
	s_load_dwordx2 s[0:1], s[4:5], 0xbc
	s_load_dwordx8 s[12:19], s[4:5], 0x18
	s_add_u32 s2, s4, 0xb0
	s_addc_u32 s3, s5, 0
	s_waitcnt lgkmcnt(0)
	s_and_b32 s1, s1, 0xffff
	s_mul_i32 s8, s8, s1
	v_add_u32_e32 v3, s8, v2
	v_mul_hi_u32 v2, v3, s15
	s_lshr_b32 s1, s0, 16
	s_and_b32 s8, s0, 0xffff
	s_mul_i32 s6, s6, s8
	v_add_u32_e32 v2, v3, v2
	v_lshrrev_b32_e32 v2, s16, v2
	v_mul_lo_u32 v4, v2, s17
	s_mul_i32 s7, s7, s1
	v_add_u32_e32 v0, s6, v0
	v_add_u32_e32 v1, s7, v1
	v_cmp_gt_u32_e32 vcc, s12, v0
	v_cmp_gt_u32_e64 s[0:1], s13, v1
	v_sub_u32_e32 v3, v3, v4
	s_and_b64 s[0:1], vcc, s[0:1]
	v_cmp_gt_u32_e32 vcc, s14, v2
	s_and_b64 s[0:1], s[0:1], vcc
	v_cmp_gt_u32_e32 vcc, s17, v3
	s_and_b64 s[0:1], s[0:1], vcc
	s_and_saveexec_b64 s[6:7], s[0:1]
	s_cbranch_execz .LBB61_6
; %bb.1:
	v_cmp_gt_i32_e32 vcc, s12, v0
	s_and_b64 exec, exec, vcc
	s_cbranch_execz .LBB61_6
; %bb.2:
	s_load_dwordx8 s[36:43], s[4:5], 0x3c
	s_load_dwordx8 s[20:27], s[4:5], 0x60
	s_load_dwordx4 s[28:31], s[4:5], 0x80
	s_load_dword s6, s[2:3], 0x0
	s_load_dword s0, s[4:5], 0x5c
	s_waitcnt lgkmcnt(0)
	v_mul_hi_u32 v4, s36, v1
	v_mul_hi_u32 v5, s39, v2
	;; [unrolled: 1-line block ×3, first 2 shown]
	v_mul_lo_u32 v7, v3, s26
	v_add_u32_e32 v4, v1, v4
	v_add_u32_e32 v5, v2, v5
	;; [unrolled: 1-line block ×3, first 2 shown]
	v_lshrrev_b32_e32 v4, s37, v4
	v_lshrrev_b32_e32 v5, s40, v5
	;; [unrolled: 1-line block ×3, first 2 shown]
	v_mul_lo_u32 v4, v4, s38
	v_mul_lo_u32 v5, v5, s41
	;; [unrolled: 1-line block ×5, first 2 shown]
	v_sub_u32_e32 v4, v1, v4
	v_sub_u32_e32 v5, v2, v5
	;; [unrolled: 1-line block ×3, first 2 shown]
	s_load_dword s9, s[4:5], 0x38
	s_load_dwordx2 s[0:1], s[4:5], 0x0
	s_load_dwordx2 s[2:3], s[4:5], 0x10
	v_mul_lo_u32 v6, v6, s30
	v_mul_lo_u32 v5, v5, s29
	;; [unrolled: 1-line block ×6, first 2 shown]
	v_add3_u32 v1, v8, v9, v7
	v_mov_b32_e32 v2, 0
	v_mov_b32_e32 v8, v2
	v_lshlrev_b64 v[1:2], 1, v[1:2]
	v_add3_u32 v4, v5, v6, v4
	v_add3_u32 v7, v10, v11, v3
	s_waitcnt lgkmcnt(0)
	v_mov_b32_e32 v3, s1
	v_add_co_u32_e32 v5, vcc, s0, v1
	v_addc_co_u32_e32 v6, vcc, v3, v2, vcc
	v_lshlrev_b64 v[1:2], 1, v[7:8]
	s_load_dwordx8 s[36:43], s[4:5], 0x90
	v_mov_b32_e32 v3, s3
	v_add_co_u32_e32 v7, vcc, s2, v1
	v_addc_co_u32_e32 v8, vcc, v3, v2, vcc
	s_cmp_lg_u64 s[0:1], 0
	v_mul_lo_u32 v2, s23, v0
	s_cselect_b64 s[0:1], -1, 0
	s_mul_i32 s6, s6, s8
	v_cndmask_b32_e64 v1, 0, 1, s[0:1]
	s_mov_b64 s[4:5], 0
	s_mul_i32 s7, s6, s23
	s_sub_i32 s8, 0, s9
	v_cmp_ne_u32_e64 s[0:1], 1, v1
	s_waitcnt lgkmcnt(0)
	v_mov_b32_e32 v9, s37
	v_mov_b32_e32 v10, s39
	;; [unrolled: 1-line block ×4, first 2 shown]
	s_branch .LBB61_4
.LBB61_3:                               ;   in Loop: Header=BB61_4 Depth=1
	v_mul_hi_u32 v1, s18, v0
	v_add_u32_e32 v2, s7, v2
	v_add_u32_e32 v1, v0, v1
	v_lshrrev_b32_e32 v1, s19, v1
	v_mad_u64_u32 v[13:14], s[2:3], s8, v1, v[0:1]
	v_mul_lo_u32 v1, v13, s27
	v_add_co_u32_e32 v13, vcc, v1, v4
	v_addc_co_u32_e64 v14, s[2:3], 0, 0, vcc
	v_lshlrev_b64 v[13:14], 2, v[13:14]
	v_ashrrev_i32_e32 v1, 31, v0
	v_add_co_u32_e32 v15, vcc, s36, v13
	v_addc_co_u32_e32 v16, vcc, v9, v14, vcc
	global_load_dword v17, v[15:16], off
	v_add_co_u32_e32 v15, vcc, s38, v13
	v_addc_co_u32_e32 v16, vcc, v10, v14, vcc
	global_load_dword v18, v[15:16], off
	v_add_co_u32_e32 v15, vcc, s40, v13
	v_addc_co_u32_e32 v16, vcc, v11, v14, vcc
	v_add_co_u32_e32 v13, vcc, s42, v13
	global_load_dword v15, v[15:16], off
	v_addc_co_u32_e32 v14, vcc, v12, v14, vcc
	global_load_dword v16, v[13:14], off
	v_lshlrev_b64 v[13:14], 1, v[0:1]
	v_add_u32_e32 v0, s6, v0
	v_cmp_le_i32_e32 vcc, s12, v0
	v_add_co_u32_e64 v13, s[2:3], v7, v13
	v_addc_co_u32_e64 v14, s[2:3], v8, v14, s[2:3]
	s_or_b64 s[4:5], vcc, s[4:5]
	s_waitcnt vmcnt(3)
	v_add_f32_e32 v1, v3, v17
	s_waitcnt vmcnt(2)
	v_add_f32_e32 v1, v1, v18
	;; [unrolled: 2-line block ×4, first 2 shown]
	v_cvt_f16_f32_e32 v1, v1
	global_store_short v[13:14], v1, off
	s_andn2_b64 exec, exec, s[4:5]
	s_cbranch_execz .LBB61_6
.LBB61_4:                               ; =>This Inner Loop Header: Depth=1
	s_and_b64 vcc, exec, s[0:1]
	v_mov_b32_e32 v3, 0
	s_cbranch_vccnz .LBB61_3
; %bb.5:                                ;   in Loop: Header=BB61_4 Depth=1
	v_ashrrev_i32_e32 v3, 31, v2
	v_lshlrev_b64 v[13:14], 1, v[2:3]
	v_add_co_u32_e32 v13, vcc, v5, v13
	v_addc_co_u32_e32 v14, vcc, v6, v14, vcc
	global_load_ushort v1, v[13:14], off
	s_waitcnt vmcnt(0)
	v_cvt_f32_f16_e32 v3, v1
	s_branch .LBB61_3
.LBB61_6:
	s_endpgm
	.section	.rodata,"a",@progbits
	.p2align	6, 0x0
	.amdhsa_kernel _ZL11k_bin_bcastIXadL_ZL6op_addffEE6__halffS0_JPKfS2_S2_S2_EEvPKT0_PKT1_PT2_iii15HIP_vector_typeIjLj3EESC_SC_SC_SC_iiiiiiiiiiiDpT3_
		.amdhsa_group_segment_fixed_size 0
		.amdhsa_private_segment_fixed_size 0
		.amdhsa_kernarg_size 432
		.amdhsa_user_sgpr_count 6
		.amdhsa_user_sgpr_private_segment_buffer 1
		.amdhsa_user_sgpr_dispatch_ptr 0
		.amdhsa_user_sgpr_queue_ptr 0
		.amdhsa_user_sgpr_kernarg_segment_ptr 1
		.amdhsa_user_sgpr_dispatch_id 0
		.amdhsa_user_sgpr_flat_scratch_init 0
		.amdhsa_user_sgpr_private_segment_size 0
		.amdhsa_uses_dynamic_stack 0
		.amdhsa_system_sgpr_private_segment_wavefront_offset 0
		.amdhsa_system_sgpr_workgroup_id_x 1
		.amdhsa_system_sgpr_workgroup_id_y 1
		.amdhsa_system_sgpr_workgroup_id_z 1
		.amdhsa_system_sgpr_workgroup_info 0
		.amdhsa_system_vgpr_workitem_id 2
		.amdhsa_next_free_vgpr 19
		.amdhsa_next_free_sgpr 44
		.amdhsa_reserve_vcc 1
		.amdhsa_reserve_flat_scratch 0
		.amdhsa_float_round_mode_32 0
		.amdhsa_float_round_mode_16_64 0
		.amdhsa_float_denorm_mode_32 3
		.amdhsa_float_denorm_mode_16_64 3
		.amdhsa_dx10_clamp 1
		.amdhsa_ieee_mode 1
		.amdhsa_fp16_overflow 0
		.amdhsa_exception_fp_ieee_invalid_op 0
		.amdhsa_exception_fp_denorm_src 0
		.amdhsa_exception_fp_ieee_div_zero 0
		.amdhsa_exception_fp_ieee_overflow 0
		.amdhsa_exception_fp_ieee_underflow 0
		.amdhsa_exception_fp_ieee_inexact 0
		.amdhsa_exception_int_div_zero 0
	.end_amdhsa_kernel
	.section	.text._ZL11k_bin_bcastIXadL_ZL6op_addffEE6__halffS0_JPKfS2_S2_S2_EEvPKT0_PKT1_PT2_iii15HIP_vector_typeIjLj3EESC_SC_SC_SC_iiiiiiiiiiiDpT3_,"axG",@progbits,_ZL11k_bin_bcastIXadL_ZL6op_addffEE6__halffS0_JPKfS2_S2_S2_EEvPKT0_PKT1_PT2_iii15HIP_vector_typeIjLj3EESC_SC_SC_SC_iiiiiiiiiiiDpT3_,comdat
.Lfunc_end61:
	.size	_ZL11k_bin_bcastIXadL_ZL6op_addffEE6__halffS0_JPKfS2_S2_S2_EEvPKT0_PKT1_PT2_iii15HIP_vector_typeIjLj3EESC_SC_SC_SC_iiiiiiiiiiiDpT3_, .Lfunc_end61-_ZL11k_bin_bcastIXadL_ZL6op_addffEE6__halffS0_JPKfS2_S2_S2_EEvPKT0_PKT1_PT2_iii15HIP_vector_typeIjLj3EESC_SC_SC_SC_iiiiiiiiiiiDpT3_
                                        ; -- End function
	.set _ZL11k_bin_bcastIXadL_ZL6op_addffEE6__halffS0_JPKfS2_S2_S2_EEvPKT0_PKT1_PT2_iii15HIP_vector_typeIjLj3EESC_SC_SC_SC_iiiiiiiiiiiDpT3_.num_vgpr, 19
	.set _ZL11k_bin_bcastIXadL_ZL6op_addffEE6__halffS0_JPKfS2_S2_S2_EEvPKT0_PKT1_PT2_iii15HIP_vector_typeIjLj3EESC_SC_SC_SC_iiiiiiiiiiiDpT3_.num_agpr, 0
	.set _ZL11k_bin_bcastIXadL_ZL6op_addffEE6__halffS0_JPKfS2_S2_S2_EEvPKT0_PKT1_PT2_iii15HIP_vector_typeIjLj3EESC_SC_SC_SC_iiiiiiiiiiiDpT3_.numbered_sgpr, 44
	.set _ZL11k_bin_bcastIXadL_ZL6op_addffEE6__halffS0_JPKfS2_S2_S2_EEvPKT0_PKT1_PT2_iii15HIP_vector_typeIjLj3EESC_SC_SC_SC_iiiiiiiiiiiDpT3_.num_named_barrier, 0
	.set _ZL11k_bin_bcastIXadL_ZL6op_addffEE6__halffS0_JPKfS2_S2_S2_EEvPKT0_PKT1_PT2_iii15HIP_vector_typeIjLj3EESC_SC_SC_SC_iiiiiiiiiiiDpT3_.private_seg_size, 0
	.set _ZL11k_bin_bcastIXadL_ZL6op_addffEE6__halffS0_JPKfS2_S2_S2_EEvPKT0_PKT1_PT2_iii15HIP_vector_typeIjLj3EESC_SC_SC_SC_iiiiiiiiiiiDpT3_.uses_vcc, 1
	.set _ZL11k_bin_bcastIXadL_ZL6op_addffEE6__halffS0_JPKfS2_S2_S2_EEvPKT0_PKT1_PT2_iii15HIP_vector_typeIjLj3EESC_SC_SC_SC_iiiiiiiiiiiDpT3_.uses_flat_scratch, 0
	.set _ZL11k_bin_bcastIXadL_ZL6op_addffEE6__halffS0_JPKfS2_S2_S2_EEvPKT0_PKT1_PT2_iii15HIP_vector_typeIjLj3EESC_SC_SC_SC_iiiiiiiiiiiDpT3_.has_dyn_sized_stack, 0
	.set _ZL11k_bin_bcastIXadL_ZL6op_addffEE6__halffS0_JPKfS2_S2_S2_EEvPKT0_PKT1_PT2_iii15HIP_vector_typeIjLj3EESC_SC_SC_SC_iiiiiiiiiiiDpT3_.has_recursion, 0
	.set _ZL11k_bin_bcastIXadL_ZL6op_addffEE6__halffS0_JPKfS2_S2_S2_EEvPKT0_PKT1_PT2_iii15HIP_vector_typeIjLj3EESC_SC_SC_SC_iiiiiiiiiiiDpT3_.has_indirect_call, 0
	.section	.AMDGPU.csdata,"",@progbits
; Kernel info:
; codeLenInByte = 804
; TotalNumSgprs: 48
; NumVgprs: 19
; ScratchSize: 0
; MemoryBound: 0
; FloatMode: 240
; IeeeMode: 1
; LDSByteSize: 0 bytes/workgroup (compile time only)
; SGPRBlocks: 5
; VGPRBlocks: 4
; NumSGPRsForWavesPerEU: 48
; NumVGPRsForWavesPerEU: 19
; Occupancy: 10
; WaveLimiterHint : 1
; COMPUTE_PGM_RSRC2:SCRATCH_EN: 0
; COMPUTE_PGM_RSRC2:USER_SGPR: 6
; COMPUTE_PGM_RSRC2:TRAP_HANDLER: 0
; COMPUTE_PGM_RSRC2:TGID_X_EN: 1
; COMPUTE_PGM_RSRC2:TGID_Y_EN: 1
; COMPUTE_PGM_RSRC2:TGID_Z_EN: 1
; COMPUTE_PGM_RSRC2:TIDIG_COMP_CNT: 2
	.section	.text._ZL19k_bin_bcast_unravelIXadL_ZL6op_addffEE6__halfffJPKfS2_S2_S2_EEvPKT0_PKT1_PT2_15HIP_vector_typeIjLj3EESC_SC_jSC_SC_SC_SC_SC_SC_iiiiiiiiiiiDpT3_,"axG",@progbits,_ZL19k_bin_bcast_unravelIXadL_ZL6op_addffEE6__halfffJPKfS2_S2_S2_EEvPKT0_PKT1_PT2_15HIP_vector_typeIjLj3EESC_SC_jSC_SC_SC_SC_SC_SC_iiiiiiiiiiiDpT3_,comdat
	.globl	_ZL19k_bin_bcast_unravelIXadL_ZL6op_addffEE6__halfffJPKfS2_S2_S2_EEvPKT0_PKT1_PT2_15HIP_vector_typeIjLj3EESC_SC_jSC_SC_SC_SC_SC_SC_iiiiiiiiiiiDpT3_ ; -- Begin function _ZL19k_bin_bcast_unravelIXadL_ZL6op_addffEE6__halfffJPKfS2_S2_S2_EEvPKT0_PKT1_PT2_15HIP_vector_typeIjLj3EESC_SC_jSC_SC_SC_SC_SC_SC_iiiiiiiiiiiDpT3_
	.p2align	8
	.type	_ZL19k_bin_bcast_unravelIXadL_ZL6op_addffEE6__halfffJPKfS2_S2_S2_EEvPKT0_PKT1_PT2_15HIP_vector_typeIjLj3EESC_SC_jSC_SC_SC_SC_SC_SC_iiiiiiiiiiiDpT3_,@function
_ZL19k_bin_bcast_unravelIXadL_ZL6op_addffEE6__halfffJPKfS2_S2_S2_EEvPKT0_PKT1_PT2_15HIP_vector_typeIjLj3EESC_SC_jSC_SC_SC_SC_SC_SC_iiiiiiiiiiiDpT3_: ; @_ZL19k_bin_bcast_unravelIXadL_ZL6op_addffEE6__halfffJPKfS2_S2_S2_EEvPKT0_PKT1_PT2_15HIP_vector_typeIjLj3EESC_SC_jSC_SC_SC_SC_SC_SC_iiiiiiiiiiiDpT3_
; %bb.0:
	s_load_dword s0, s[4:5], 0xe4
	s_load_dwordx8 s[8:15], s[4:5], 0x38
	s_waitcnt lgkmcnt(0)
	s_and_b32 s0, s0, 0xffff
	s_mul_i32 s6, s6, s0
	v_add_u32_e32 v0, s6, v0
	v_mul_hi_u32 v1, v0, s10
	s_load_dwordx4 s[0:3], s[4:5], 0x18
	s_waitcnt lgkmcnt(0)
	s_load_dword s3, s[4:5], 0x2c
	v_add_u32_e32 v1, v0, v1
	v_lshrrev_b32_e32 v1, s11, v1
	v_mul_lo_u32 v2, v1, s12
	v_sub_u32_e32 v0, v0, v2
	v_mul_hi_u32 v2, v0, s13
	v_add_u32_e32 v2, v0, v2
	v_lshrrev_b32_e32 v3, s14, v2
	v_mul_lo_u32 v2, v3, s15
	v_cmp_gt_u32_e32 vcc, s8, v3
	v_sub_u32_e32 v0, v0, v2
	v_mul_hi_u32 v2, v0, s0
	v_add_u32_e32 v2, v0, v2
	v_lshrrev_b32_e32 v4, s1, v2
	v_mul_lo_u32 v2, v4, s2
	s_waitcnt lgkmcnt(0)
	v_cmp_gt_u32_e64 s[0:1], s3, v4
	v_sub_u32_e32 v0, v0, v2
	v_cmp_gt_u32_e64 s[2:3], s2, v0
	s_and_b64 s[0:1], s[2:3], s[0:1]
	s_and_b64 s[0:1], s[0:1], vcc
	v_cmp_gt_u32_e32 vcc, s9, v1
	s_and_b64 s[0:1], vcc, s[0:1]
	s_and_saveexec_b64 s[2:3], s[0:1]
	s_cbranch_execz .LBB62_4
; %bb.1:
	s_load_dwordx2 s[6:7], s[4:5], 0x0
	s_load_dwordx4 s[0:3], s[4:5], 0xa8
	s_load_dwordx8 s[8:15], s[4:5], 0x88
	s_load_dwordx4 s[24:27], s[4:5], 0x78
	s_load_dwordx8 s[16:23], s[4:5], 0x58
	v_mov_b32_e32 v2, 0
	s_waitcnt lgkmcnt(0)
	s_cmp_eq_u64 s[6:7], 0
	v_mov_b32_e32 v5, 0
	s_cbranch_scc1 .LBB62_3
; %bb.2:
	v_mul_lo_u32 v5, v1, s14
	v_mul_lo_u32 v7, v3, s13
	;; [unrolled: 1-line block ×3, first 2 shown]
	v_mov_b32_e32 v6, 0
	v_mov_b32_e32 v9, s7
	v_add3_u32 v5, v7, v5, v8
	v_lshlrev_b64 v[7:8], 1, v[5:6]
	v_mul_lo_u32 v5, v0, s11
	v_add_co_u32_e32 v7, vcc, s6, v7
	v_addc_co_u32_e32 v8, vcc, v9, v8, vcc
	v_lshlrev_b64 v[5:6], 1, v[5:6]
	v_add_co_u32_e32 v5, vcc, v7, v5
	v_addc_co_u32_e32 v6, vcc, v8, v6, vcc
	global_load_ushort v5, v[5:6], off
	s_waitcnt vmcnt(0)
	v_cvt_f32_f16_e32 v5, v5
.LBB62_3:
	v_mul_hi_u32 v6, s19, v4
	v_mul_hi_u32 v7, s22, v3
	;; [unrolled: 1-line block ×4, first 2 shown]
	v_add_u32_e32 v6, v4, v6
	v_add_u32_e32 v7, v3, v7
	;; [unrolled: 1-line block ×3, first 2 shown]
	v_lshrrev_b32_e32 v6, s20, v6
	v_lshrrev_b32_e32 v7, s23, v7
	;; [unrolled: 1-line block ×3, first 2 shown]
	v_add_u32_e32 v9, v0, v9
	v_mul_lo_u32 v6, v6, s21
	v_mul_lo_u32 v7, v7, s24
	;; [unrolled: 1-line block ×3, first 2 shown]
	v_lshrrev_b32_e32 v9, s17, v9
	v_mul_lo_u32 v9, v9, s18
	v_sub_u32_e32 v6, v4, v6
	v_sub_u32_e32 v7, v3, v7
	;; [unrolled: 1-line block ×3, first 2 shown]
	v_mul_lo_u32 v8, v8, s2
	v_mul_lo_u32 v7, v7, s1
	;; [unrolled: 1-line block ×3, first 2 shown]
	v_sub_u32_e32 v9, v0, v9
	v_mul_lo_u32 v9, v9, s15
	s_load_dwordx8 s[12:19], s[4:5], 0xb8
	v_add3_u32 v6, v7, v8, v6
	v_ashrrev_i32_e32 v7, 31, v6
	v_ashrrev_i32_e32 v8, 31, v9
	v_add_co_u32_e32 v6, vcc, v9, v6
	v_addc_co_u32_e32 v7, vcc, v8, v7, vcc
	v_lshlrev_b64 v[6:7], 2, v[6:7]
	s_waitcnt lgkmcnt(0)
	v_mov_b32_e32 v9, s13
	v_add_co_u32_e32 v8, vcc, s12, v6
	v_addc_co_u32_e32 v9, vcc, v9, v7, vcc
	global_load_dword v10, v[8:9], off
	v_mov_b32_e32 v9, s15
	v_add_co_u32_e32 v8, vcc, s14, v6
	v_addc_co_u32_e32 v9, vcc, v9, v7, vcc
	global_load_dword v11, v[8:9], off
	;; [unrolled: 4-line block ×4, first 2 shown]
	v_mul_lo_u32 v7, v1, s10
	v_mul_lo_u32 v9, v3, s9
	;; [unrolled: 1-line block ×3, first 2 shown]
	s_load_dwordx2 s[0:1], s[4:5], 0x10
	v_mov_b32_e32 v1, v2
	v_lshlrev_b64 v[3:4], 2, v[0:1]
	v_add3_u32 v1, v9, v7, v12
	v_lshlrev_b64 v[0:1], 2, v[1:2]
	s_waitcnt lgkmcnt(0)
	v_mov_b32_e32 v2, s1
	v_add_co_u32_e32 v0, vcc, s0, v0
	v_addc_co_u32_e32 v1, vcc, v2, v1, vcc
	v_add_co_u32_e32 v0, vcc, v0, v3
	v_addc_co_u32_e32 v1, vcc, v1, v4, vcc
	s_waitcnt vmcnt(3)
	v_add_f32_e32 v2, v5, v10
	s_waitcnt vmcnt(2)
	v_add_f32_e32 v2, v2, v11
	;; [unrolled: 2-line block ×4, first 2 shown]
	global_store_dword v[0:1], v2, off
.LBB62_4:
	s_endpgm
	.section	.rodata,"a",@progbits
	.p2align	6, 0x0
	.amdhsa_kernel _ZL19k_bin_bcast_unravelIXadL_ZL6op_addffEE6__halfffJPKfS2_S2_S2_EEvPKT0_PKT1_PT2_15HIP_vector_typeIjLj3EESC_SC_jSC_SC_SC_SC_SC_SC_iiiiiiiiiiiDpT3_
		.amdhsa_group_segment_fixed_size 0
		.amdhsa_private_segment_fixed_size 0
		.amdhsa_kernarg_size 472
		.amdhsa_user_sgpr_count 6
		.amdhsa_user_sgpr_private_segment_buffer 1
		.amdhsa_user_sgpr_dispatch_ptr 0
		.amdhsa_user_sgpr_queue_ptr 0
		.amdhsa_user_sgpr_kernarg_segment_ptr 1
		.amdhsa_user_sgpr_dispatch_id 0
		.amdhsa_user_sgpr_flat_scratch_init 0
		.amdhsa_user_sgpr_private_segment_size 0
		.amdhsa_uses_dynamic_stack 0
		.amdhsa_system_sgpr_private_segment_wavefront_offset 0
		.amdhsa_system_sgpr_workgroup_id_x 1
		.amdhsa_system_sgpr_workgroup_id_y 0
		.amdhsa_system_sgpr_workgroup_id_z 0
		.amdhsa_system_sgpr_workgroup_info 0
		.amdhsa_system_vgpr_workitem_id 0
		.amdhsa_next_free_vgpr 13
		.amdhsa_next_free_sgpr 28
		.amdhsa_reserve_vcc 1
		.amdhsa_reserve_flat_scratch 0
		.amdhsa_float_round_mode_32 0
		.amdhsa_float_round_mode_16_64 0
		.amdhsa_float_denorm_mode_32 3
		.amdhsa_float_denorm_mode_16_64 3
		.amdhsa_dx10_clamp 1
		.amdhsa_ieee_mode 1
		.amdhsa_fp16_overflow 0
		.amdhsa_exception_fp_ieee_invalid_op 0
		.amdhsa_exception_fp_denorm_src 0
		.amdhsa_exception_fp_ieee_div_zero 0
		.amdhsa_exception_fp_ieee_overflow 0
		.amdhsa_exception_fp_ieee_underflow 0
		.amdhsa_exception_fp_ieee_inexact 0
		.amdhsa_exception_int_div_zero 0
	.end_amdhsa_kernel
	.section	.text._ZL19k_bin_bcast_unravelIXadL_ZL6op_addffEE6__halfffJPKfS2_S2_S2_EEvPKT0_PKT1_PT2_15HIP_vector_typeIjLj3EESC_SC_jSC_SC_SC_SC_SC_SC_iiiiiiiiiiiDpT3_,"axG",@progbits,_ZL19k_bin_bcast_unravelIXadL_ZL6op_addffEE6__halfffJPKfS2_S2_S2_EEvPKT0_PKT1_PT2_15HIP_vector_typeIjLj3EESC_SC_jSC_SC_SC_SC_SC_SC_iiiiiiiiiiiDpT3_,comdat
.Lfunc_end62:
	.size	_ZL19k_bin_bcast_unravelIXadL_ZL6op_addffEE6__halfffJPKfS2_S2_S2_EEvPKT0_PKT1_PT2_15HIP_vector_typeIjLj3EESC_SC_jSC_SC_SC_SC_SC_SC_iiiiiiiiiiiDpT3_, .Lfunc_end62-_ZL19k_bin_bcast_unravelIXadL_ZL6op_addffEE6__halfffJPKfS2_S2_S2_EEvPKT0_PKT1_PT2_15HIP_vector_typeIjLj3EESC_SC_jSC_SC_SC_SC_SC_SC_iiiiiiiiiiiDpT3_
                                        ; -- End function
	.set _ZL19k_bin_bcast_unravelIXadL_ZL6op_addffEE6__halfffJPKfS2_S2_S2_EEvPKT0_PKT1_PT2_15HIP_vector_typeIjLj3EESC_SC_jSC_SC_SC_SC_SC_SC_iiiiiiiiiiiDpT3_.num_vgpr, 13
	.set _ZL19k_bin_bcast_unravelIXadL_ZL6op_addffEE6__halfffJPKfS2_S2_S2_EEvPKT0_PKT1_PT2_15HIP_vector_typeIjLj3EESC_SC_jSC_SC_SC_SC_SC_SC_iiiiiiiiiiiDpT3_.num_agpr, 0
	.set _ZL19k_bin_bcast_unravelIXadL_ZL6op_addffEE6__halfffJPKfS2_S2_S2_EEvPKT0_PKT1_PT2_15HIP_vector_typeIjLj3EESC_SC_jSC_SC_SC_SC_SC_SC_iiiiiiiiiiiDpT3_.numbered_sgpr, 28
	.set _ZL19k_bin_bcast_unravelIXadL_ZL6op_addffEE6__halfffJPKfS2_S2_S2_EEvPKT0_PKT1_PT2_15HIP_vector_typeIjLj3EESC_SC_jSC_SC_SC_SC_SC_SC_iiiiiiiiiiiDpT3_.num_named_barrier, 0
	.set _ZL19k_bin_bcast_unravelIXadL_ZL6op_addffEE6__halfffJPKfS2_S2_S2_EEvPKT0_PKT1_PT2_15HIP_vector_typeIjLj3EESC_SC_jSC_SC_SC_SC_SC_SC_iiiiiiiiiiiDpT3_.private_seg_size, 0
	.set _ZL19k_bin_bcast_unravelIXadL_ZL6op_addffEE6__halfffJPKfS2_S2_S2_EEvPKT0_PKT1_PT2_15HIP_vector_typeIjLj3EESC_SC_jSC_SC_SC_SC_SC_SC_iiiiiiiiiiiDpT3_.uses_vcc, 1
	.set _ZL19k_bin_bcast_unravelIXadL_ZL6op_addffEE6__halfffJPKfS2_S2_S2_EEvPKT0_PKT1_PT2_15HIP_vector_typeIjLj3EESC_SC_jSC_SC_SC_SC_SC_SC_iiiiiiiiiiiDpT3_.uses_flat_scratch, 0
	.set _ZL19k_bin_bcast_unravelIXadL_ZL6op_addffEE6__halfffJPKfS2_S2_S2_EEvPKT0_PKT1_PT2_15HIP_vector_typeIjLj3EESC_SC_jSC_SC_SC_SC_SC_SC_iiiiiiiiiiiDpT3_.has_dyn_sized_stack, 0
	.set _ZL19k_bin_bcast_unravelIXadL_ZL6op_addffEE6__halfffJPKfS2_S2_S2_EEvPKT0_PKT1_PT2_15HIP_vector_typeIjLj3EESC_SC_jSC_SC_SC_SC_SC_SC_iiiiiiiiiiiDpT3_.has_recursion, 0
	.set _ZL19k_bin_bcast_unravelIXadL_ZL6op_addffEE6__halfffJPKfS2_S2_S2_EEvPKT0_PKT1_PT2_15HIP_vector_typeIjLj3EESC_SC_jSC_SC_SC_SC_SC_SC_iiiiiiiiiiiDpT3_.has_indirect_call, 0
	.section	.AMDGPU.csdata,"",@progbits
; Kernel info:
; codeLenInByte = 740
; TotalNumSgprs: 32
; NumVgprs: 13
; ScratchSize: 0
; MemoryBound: 0
; FloatMode: 240
; IeeeMode: 1
; LDSByteSize: 0 bytes/workgroup (compile time only)
; SGPRBlocks: 3
; VGPRBlocks: 3
; NumSGPRsForWavesPerEU: 32
; NumVGPRsForWavesPerEU: 13
; Occupancy: 10
; WaveLimiterHint : 1
; COMPUTE_PGM_RSRC2:SCRATCH_EN: 0
; COMPUTE_PGM_RSRC2:USER_SGPR: 6
; COMPUTE_PGM_RSRC2:TRAP_HANDLER: 0
; COMPUTE_PGM_RSRC2:TGID_X_EN: 1
; COMPUTE_PGM_RSRC2:TGID_Y_EN: 0
; COMPUTE_PGM_RSRC2:TGID_Z_EN: 0
; COMPUTE_PGM_RSRC2:TIDIG_COMP_CNT: 0
	.section	.text._ZL11k_bin_bcastIXadL_ZL6op_addffEE6__halfffJPKfS2_S2_S2_EEvPKT0_PKT1_PT2_iii15HIP_vector_typeIjLj3EESC_SC_SC_SC_iiiiiiiiiiiDpT3_,"axG",@progbits,_ZL11k_bin_bcastIXadL_ZL6op_addffEE6__halfffJPKfS2_S2_S2_EEvPKT0_PKT1_PT2_iii15HIP_vector_typeIjLj3EESC_SC_SC_SC_iiiiiiiiiiiDpT3_,comdat
	.globl	_ZL11k_bin_bcastIXadL_ZL6op_addffEE6__halfffJPKfS2_S2_S2_EEvPKT0_PKT1_PT2_iii15HIP_vector_typeIjLj3EESC_SC_SC_SC_iiiiiiiiiiiDpT3_ ; -- Begin function _ZL11k_bin_bcastIXadL_ZL6op_addffEE6__halfffJPKfS2_S2_S2_EEvPKT0_PKT1_PT2_iii15HIP_vector_typeIjLj3EESC_SC_SC_SC_iiiiiiiiiiiDpT3_
	.p2align	8
	.type	_ZL11k_bin_bcastIXadL_ZL6op_addffEE6__halfffJPKfS2_S2_S2_EEvPKT0_PKT1_PT2_iii15HIP_vector_typeIjLj3EESC_SC_SC_SC_iiiiiiiiiiiDpT3_,@function
_ZL11k_bin_bcastIXadL_ZL6op_addffEE6__halfffJPKfS2_S2_S2_EEvPKT0_PKT1_PT2_iii15HIP_vector_typeIjLj3EESC_SC_SC_SC_iiiiiiiiiiiDpT3_: ; @_ZL11k_bin_bcastIXadL_ZL6op_addffEE6__halfffJPKfS2_S2_S2_EEvPKT0_PKT1_PT2_iii15HIP_vector_typeIjLj3EESC_SC_SC_SC_iiiiiiiiiiiDpT3_
; %bb.0:
	s_load_dwordx2 s[0:1], s[4:5], 0xbc
	s_load_dwordx8 s[12:19], s[4:5], 0x18
	s_add_u32 s2, s4, 0xb0
	s_addc_u32 s3, s5, 0
	s_waitcnt lgkmcnt(0)
	s_and_b32 s1, s1, 0xffff
	s_mul_i32 s8, s8, s1
	v_add_u32_e32 v3, s8, v2
	v_mul_hi_u32 v2, v3, s15
	s_lshr_b32 s1, s0, 16
	s_and_b32 s8, s0, 0xffff
	s_mul_i32 s6, s6, s8
	v_add_u32_e32 v2, v3, v2
	v_lshrrev_b32_e32 v2, s16, v2
	v_mul_lo_u32 v4, v2, s17
	s_mul_i32 s7, s7, s1
	v_add_u32_e32 v0, s6, v0
	v_add_u32_e32 v1, s7, v1
	v_cmp_gt_u32_e32 vcc, s12, v0
	v_cmp_gt_u32_e64 s[0:1], s13, v1
	v_sub_u32_e32 v3, v3, v4
	s_and_b64 s[0:1], vcc, s[0:1]
	v_cmp_gt_u32_e32 vcc, s14, v2
	s_and_b64 s[0:1], s[0:1], vcc
	v_cmp_gt_u32_e32 vcc, s17, v3
	s_and_b64 s[0:1], s[0:1], vcc
	s_and_saveexec_b64 s[6:7], s[0:1]
	s_cbranch_execz .LBB63_6
; %bb.1:
	v_cmp_gt_i32_e32 vcc, s12, v0
	s_and_b64 exec, exec, vcc
	s_cbranch_execz .LBB63_6
; %bb.2:
	s_load_dwordx8 s[36:43], s[4:5], 0x3c
	s_load_dwordx8 s[20:27], s[4:5], 0x60
	s_load_dwordx4 s[28:31], s[4:5], 0x80
	s_load_dword s6, s[2:3], 0x0
	s_load_dword s0, s[4:5], 0x5c
	s_waitcnt lgkmcnt(0)
	v_mul_hi_u32 v4, s36, v1
	v_mul_hi_u32 v5, s39, v2
	;; [unrolled: 1-line block ×3, first 2 shown]
	v_mul_lo_u32 v7, v3, s26
	v_add_u32_e32 v4, v1, v4
	v_add_u32_e32 v5, v2, v5
	;; [unrolled: 1-line block ×3, first 2 shown]
	v_lshrrev_b32_e32 v4, s37, v4
	v_lshrrev_b32_e32 v5, s40, v5
	;; [unrolled: 1-line block ×3, first 2 shown]
	v_mul_lo_u32 v4, v4, s38
	v_mul_lo_u32 v5, v5, s41
	;; [unrolled: 1-line block ×5, first 2 shown]
	v_sub_u32_e32 v4, v1, v4
	v_sub_u32_e32 v5, v2, v5
	;; [unrolled: 1-line block ×3, first 2 shown]
	s_load_dword s9, s[4:5], 0x38
	s_load_dwordx2 s[0:1], s[4:5], 0x0
	s_load_dwordx2 s[2:3], s[4:5], 0x10
	v_mul_lo_u32 v6, v6, s30
	v_mul_lo_u32 v5, v5, s29
	;; [unrolled: 1-line block ×6, first 2 shown]
	v_add3_u32 v1, v8, v9, v7
	v_mov_b32_e32 v2, 0
	v_mov_b32_e32 v8, v2
	v_lshlrev_b64 v[1:2], 1, v[1:2]
	v_add3_u32 v4, v5, v6, v4
	v_add3_u32 v7, v10, v11, v3
	s_waitcnt lgkmcnt(0)
	v_mov_b32_e32 v3, s1
	v_add_co_u32_e32 v5, vcc, s0, v1
	v_addc_co_u32_e32 v6, vcc, v3, v2, vcc
	v_lshlrev_b64 v[1:2], 2, v[7:8]
	s_load_dwordx8 s[36:43], s[4:5], 0x90
	v_mov_b32_e32 v3, s3
	v_add_co_u32_e32 v7, vcc, s2, v1
	v_addc_co_u32_e32 v8, vcc, v3, v2, vcc
	s_cmp_lg_u64 s[0:1], 0
	v_mul_lo_u32 v2, s23, v0
	s_cselect_b64 s[0:1], -1, 0
	s_mul_i32 s6, s6, s8
	v_cndmask_b32_e64 v1, 0, 1, s[0:1]
	s_mov_b64 s[4:5], 0
	s_mul_i32 s7, s6, s23
	s_sub_i32 s8, 0, s9
	v_cmp_ne_u32_e64 s[0:1], 1, v1
	s_waitcnt lgkmcnt(0)
	v_mov_b32_e32 v9, s37
	v_mov_b32_e32 v10, s39
	v_mov_b32_e32 v11, s41
	v_mov_b32_e32 v12, s43
	s_branch .LBB63_4
.LBB63_3:                               ;   in Loop: Header=BB63_4 Depth=1
	v_mul_hi_u32 v1, s18, v0
	v_add_u32_e32 v2, s7, v2
	v_add_u32_e32 v1, v0, v1
	v_lshrrev_b32_e32 v1, s19, v1
	v_mad_u64_u32 v[13:14], s[2:3], s8, v1, v[0:1]
	v_mul_lo_u32 v1, v13, s27
	v_add_co_u32_e32 v13, vcc, v1, v4
	v_addc_co_u32_e64 v14, s[2:3], 0, 0, vcc
	v_lshlrev_b64 v[13:14], 2, v[13:14]
	v_ashrrev_i32_e32 v1, 31, v0
	v_add_co_u32_e32 v15, vcc, s36, v13
	v_addc_co_u32_e32 v16, vcc, v9, v14, vcc
	global_load_dword v17, v[15:16], off
	v_add_co_u32_e32 v15, vcc, s38, v13
	v_addc_co_u32_e32 v16, vcc, v10, v14, vcc
	global_load_dword v18, v[15:16], off
	v_add_co_u32_e32 v15, vcc, s40, v13
	v_addc_co_u32_e32 v16, vcc, v11, v14, vcc
	v_add_co_u32_e32 v13, vcc, s42, v13
	global_load_dword v15, v[15:16], off
	v_addc_co_u32_e32 v14, vcc, v12, v14, vcc
	global_load_dword v16, v[13:14], off
	v_lshlrev_b64 v[13:14], 2, v[0:1]
	v_add_u32_e32 v0, s6, v0
	v_cmp_le_i32_e32 vcc, s12, v0
	v_add_co_u32_e64 v13, s[2:3], v7, v13
	v_addc_co_u32_e64 v14, s[2:3], v8, v14, s[2:3]
	s_or_b64 s[4:5], vcc, s[4:5]
	s_waitcnt vmcnt(3)
	v_add_f32_e32 v1, v3, v17
	s_waitcnt vmcnt(2)
	v_add_f32_e32 v1, v1, v18
	;; [unrolled: 2-line block ×4, first 2 shown]
	global_store_dword v[13:14], v1, off
	s_andn2_b64 exec, exec, s[4:5]
	s_cbranch_execz .LBB63_6
.LBB63_4:                               ; =>This Inner Loop Header: Depth=1
	s_and_b64 vcc, exec, s[0:1]
	v_mov_b32_e32 v3, 0
	s_cbranch_vccnz .LBB63_3
; %bb.5:                                ;   in Loop: Header=BB63_4 Depth=1
	v_ashrrev_i32_e32 v3, 31, v2
	v_lshlrev_b64 v[13:14], 1, v[2:3]
	v_add_co_u32_e32 v13, vcc, v5, v13
	v_addc_co_u32_e32 v14, vcc, v6, v14, vcc
	global_load_ushort v1, v[13:14], off
	s_waitcnt vmcnt(0)
	v_cvt_f32_f16_e32 v3, v1
	s_branch .LBB63_3
.LBB63_6:
	s_endpgm
	.section	.rodata,"a",@progbits
	.p2align	6, 0x0
	.amdhsa_kernel _ZL11k_bin_bcastIXadL_ZL6op_addffEE6__halfffJPKfS2_S2_S2_EEvPKT0_PKT1_PT2_iii15HIP_vector_typeIjLj3EESC_SC_SC_SC_iiiiiiiiiiiDpT3_
		.amdhsa_group_segment_fixed_size 0
		.amdhsa_private_segment_fixed_size 0
		.amdhsa_kernarg_size 432
		.amdhsa_user_sgpr_count 6
		.amdhsa_user_sgpr_private_segment_buffer 1
		.amdhsa_user_sgpr_dispatch_ptr 0
		.amdhsa_user_sgpr_queue_ptr 0
		.amdhsa_user_sgpr_kernarg_segment_ptr 1
		.amdhsa_user_sgpr_dispatch_id 0
		.amdhsa_user_sgpr_flat_scratch_init 0
		.amdhsa_user_sgpr_private_segment_size 0
		.amdhsa_uses_dynamic_stack 0
		.amdhsa_system_sgpr_private_segment_wavefront_offset 0
		.amdhsa_system_sgpr_workgroup_id_x 1
		.amdhsa_system_sgpr_workgroup_id_y 1
		.amdhsa_system_sgpr_workgroup_id_z 1
		.amdhsa_system_sgpr_workgroup_info 0
		.amdhsa_system_vgpr_workitem_id 2
		.amdhsa_next_free_vgpr 19
		.amdhsa_next_free_sgpr 44
		.amdhsa_reserve_vcc 1
		.amdhsa_reserve_flat_scratch 0
		.amdhsa_float_round_mode_32 0
		.amdhsa_float_round_mode_16_64 0
		.amdhsa_float_denorm_mode_32 3
		.amdhsa_float_denorm_mode_16_64 3
		.amdhsa_dx10_clamp 1
		.amdhsa_ieee_mode 1
		.amdhsa_fp16_overflow 0
		.amdhsa_exception_fp_ieee_invalid_op 0
		.amdhsa_exception_fp_denorm_src 0
		.amdhsa_exception_fp_ieee_div_zero 0
		.amdhsa_exception_fp_ieee_overflow 0
		.amdhsa_exception_fp_ieee_underflow 0
		.amdhsa_exception_fp_ieee_inexact 0
		.amdhsa_exception_int_div_zero 0
	.end_amdhsa_kernel
	.section	.text._ZL11k_bin_bcastIXadL_ZL6op_addffEE6__halfffJPKfS2_S2_S2_EEvPKT0_PKT1_PT2_iii15HIP_vector_typeIjLj3EESC_SC_SC_SC_iiiiiiiiiiiDpT3_,"axG",@progbits,_ZL11k_bin_bcastIXadL_ZL6op_addffEE6__halfffJPKfS2_S2_S2_EEvPKT0_PKT1_PT2_iii15HIP_vector_typeIjLj3EESC_SC_SC_SC_iiiiiiiiiiiDpT3_,comdat
.Lfunc_end63:
	.size	_ZL11k_bin_bcastIXadL_ZL6op_addffEE6__halfffJPKfS2_S2_S2_EEvPKT0_PKT1_PT2_iii15HIP_vector_typeIjLj3EESC_SC_SC_SC_iiiiiiiiiiiDpT3_, .Lfunc_end63-_ZL11k_bin_bcastIXadL_ZL6op_addffEE6__halfffJPKfS2_S2_S2_EEvPKT0_PKT1_PT2_iii15HIP_vector_typeIjLj3EESC_SC_SC_SC_iiiiiiiiiiiDpT3_
                                        ; -- End function
	.set _ZL11k_bin_bcastIXadL_ZL6op_addffEE6__halfffJPKfS2_S2_S2_EEvPKT0_PKT1_PT2_iii15HIP_vector_typeIjLj3EESC_SC_SC_SC_iiiiiiiiiiiDpT3_.num_vgpr, 19
	.set _ZL11k_bin_bcastIXadL_ZL6op_addffEE6__halfffJPKfS2_S2_S2_EEvPKT0_PKT1_PT2_iii15HIP_vector_typeIjLj3EESC_SC_SC_SC_iiiiiiiiiiiDpT3_.num_agpr, 0
	.set _ZL11k_bin_bcastIXadL_ZL6op_addffEE6__halfffJPKfS2_S2_S2_EEvPKT0_PKT1_PT2_iii15HIP_vector_typeIjLj3EESC_SC_SC_SC_iiiiiiiiiiiDpT3_.numbered_sgpr, 44
	.set _ZL11k_bin_bcastIXadL_ZL6op_addffEE6__halfffJPKfS2_S2_S2_EEvPKT0_PKT1_PT2_iii15HIP_vector_typeIjLj3EESC_SC_SC_SC_iiiiiiiiiiiDpT3_.num_named_barrier, 0
	.set _ZL11k_bin_bcastIXadL_ZL6op_addffEE6__halfffJPKfS2_S2_S2_EEvPKT0_PKT1_PT2_iii15HIP_vector_typeIjLj3EESC_SC_SC_SC_iiiiiiiiiiiDpT3_.private_seg_size, 0
	.set _ZL11k_bin_bcastIXadL_ZL6op_addffEE6__halfffJPKfS2_S2_S2_EEvPKT0_PKT1_PT2_iii15HIP_vector_typeIjLj3EESC_SC_SC_SC_iiiiiiiiiiiDpT3_.uses_vcc, 1
	.set _ZL11k_bin_bcastIXadL_ZL6op_addffEE6__halfffJPKfS2_S2_S2_EEvPKT0_PKT1_PT2_iii15HIP_vector_typeIjLj3EESC_SC_SC_SC_iiiiiiiiiiiDpT3_.uses_flat_scratch, 0
	.set _ZL11k_bin_bcastIXadL_ZL6op_addffEE6__halfffJPKfS2_S2_S2_EEvPKT0_PKT1_PT2_iii15HIP_vector_typeIjLj3EESC_SC_SC_SC_iiiiiiiiiiiDpT3_.has_dyn_sized_stack, 0
	.set _ZL11k_bin_bcastIXadL_ZL6op_addffEE6__halfffJPKfS2_S2_S2_EEvPKT0_PKT1_PT2_iii15HIP_vector_typeIjLj3EESC_SC_SC_SC_iiiiiiiiiiiDpT3_.has_recursion, 0
	.set _ZL11k_bin_bcastIXadL_ZL6op_addffEE6__halfffJPKfS2_S2_S2_EEvPKT0_PKT1_PT2_iii15HIP_vector_typeIjLj3EESC_SC_SC_SC_iiiiiiiiiiiDpT3_.has_indirect_call, 0
	.section	.AMDGPU.csdata,"",@progbits
; Kernel info:
; codeLenInByte = 800
; TotalNumSgprs: 48
; NumVgprs: 19
; ScratchSize: 0
; MemoryBound: 0
; FloatMode: 240
; IeeeMode: 1
; LDSByteSize: 0 bytes/workgroup (compile time only)
; SGPRBlocks: 5
; VGPRBlocks: 4
; NumSGPRsForWavesPerEU: 48
; NumVGPRsForWavesPerEU: 19
; Occupancy: 10
; WaveLimiterHint : 1
; COMPUTE_PGM_RSRC2:SCRATCH_EN: 0
; COMPUTE_PGM_RSRC2:USER_SGPR: 6
; COMPUTE_PGM_RSRC2:TRAP_HANDLER: 0
; COMPUTE_PGM_RSRC2:TGID_X_EN: 1
; COMPUTE_PGM_RSRC2:TGID_Y_EN: 1
; COMPUTE_PGM_RSRC2:TGID_Z_EN: 1
; COMPUTE_PGM_RSRC2:TIDIG_COMP_CNT: 2
	.section	.text._ZL19k_bin_bcast_unravelIXadL_ZL6op_addffEEfffJPKfS1_S1_S1_S1_EEvPKT0_PKT1_PT2_15HIP_vector_typeIjLj3EESB_SB_jSB_SB_SB_SB_SB_SB_iiiiiiiiiiiDpT3_,"axG",@progbits,_ZL19k_bin_bcast_unravelIXadL_ZL6op_addffEEfffJPKfS1_S1_S1_S1_EEvPKT0_PKT1_PT2_15HIP_vector_typeIjLj3EESB_SB_jSB_SB_SB_SB_SB_SB_iiiiiiiiiiiDpT3_,comdat
	.globl	_ZL19k_bin_bcast_unravelIXadL_ZL6op_addffEEfffJPKfS1_S1_S1_S1_EEvPKT0_PKT1_PT2_15HIP_vector_typeIjLj3EESB_SB_jSB_SB_SB_SB_SB_SB_iiiiiiiiiiiDpT3_ ; -- Begin function _ZL19k_bin_bcast_unravelIXadL_ZL6op_addffEEfffJPKfS1_S1_S1_S1_EEvPKT0_PKT1_PT2_15HIP_vector_typeIjLj3EESB_SB_jSB_SB_SB_SB_SB_SB_iiiiiiiiiiiDpT3_
	.p2align	8
	.type	_ZL19k_bin_bcast_unravelIXadL_ZL6op_addffEEfffJPKfS1_S1_S1_S1_EEvPKT0_PKT1_PT2_15HIP_vector_typeIjLj3EESB_SB_jSB_SB_SB_SB_SB_SB_iiiiiiiiiiiDpT3_,@function
_ZL19k_bin_bcast_unravelIXadL_ZL6op_addffEEfffJPKfS1_S1_S1_S1_EEvPKT0_PKT1_PT2_15HIP_vector_typeIjLj3EESB_SB_jSB_SB_SB_SB_SB_SB_iiiiiiiiiiiDpT3_: ; @_ZL19k_bin_bcast_unravelIXadL_ZL6op_addffEEfffJPKfS1_S1_S1_S1_EEvPKT0_PKT1_PT2_15HIP_vector_typeIjLj3EESB_SB_jSB_SB_SB_SB_SB_SB_iiiiiiiiiiiDpT3_
; %bb.0:
	s_load_dword s0, s[4:5], 0xec
	s_load_dwordx8 s[8:15], s[4:5], 0x38
	s_waitcnt lgkmcnt(0)
	s_and_b32 s0, s0, 0xffff
	s_mul_i32 s6, s6, s0
	v_add_u32_e32 v0, s6, v0
	v_mul_hi_u32 v1, v0, s10
	s_load_dwordx4 s[0:3], s[4:5], 0x18
	s_waitcnt lgkmcnt(0)
	s_load_dword s3, s[4:5], 0x2c
	v_add_u32_e32 v1, v0, v1
	v_lshrrev_b32_e32 v1, s11, v1
	v_mul_lo_u32 v2, v1, s12
	v_sub_u32_e32 v0, v0, v2
	v_mul_hi_u32 v2, v0, s13
	v_add_u32_e32 v2, v0, v2
	v_lshrrev_b32_e32 v3, s14, v2
	v_mul_lo_u32 v2, v3, s15
	v_cmp_gt_u32_e32 vcc, s8, v3
	v_sub_u32_e32 v0, v0, v2
	v_mul_hi_u32 v2, v0, s0
	v_add_u32_e32 v2, v0, v2
	v_lshrrev_b32_e32 v4, s1, v2
	v_mul_lo_u32 v2, v4, s2
	s_waitcnt lgkmcnt(0)
	v_cmp_gt_u32_e64 s[0:1], s3, v4
	v_sub_u32_e32 v0, v0, v2
	v_cmp_gt_u32_e64 s[2:3], s2, v0
	s_and_b64 s[0:1], s[2:3], s[0:1]
	s_and_b64 s[0:1], s[0:1], vcc
	v_cmp_gt_u32_e32 vcc, s9, v1
	s_and_b64 s[0:1], vcc, s[0:1]
	s_and_saveexec_b64 s[2:3], s[0:1]
	s_cbranch_execz .LBB64_4
; %bb.1:
	s_load_dwordx2 s[6:7], s[4:5], 0x0
	s_load_dwordx4 s[0:3], s[4:5], 0xa8
	s_load_dwordx8 s[8:15], s[4:5], 0x88
	s_load_dwordx4 s[24:27], s[4:5], 0x78
	s_load_dwordx8 s[16:23], s[4:5], 0x58
	v_mov_b32_e32 v2, 0
	s_waitcnt lgkmcnt(0)
	s_cmp_eq_u64 s[6:7], 0
	v_mov_b32_e32 v5, 0
	s_cbranch_scc1 .LBB64_3
; %bb.2:
	v_mul_lo_u32 v5, v1, s14
	v_mul_lo_u32 v7, v3, s13
	;; [unrolled: 1-line block ×3, first 2 shown]
	v_mov_b32_e32 v6, 0
	v_mov_b32_e32 v9, s7
	v_add3_u32 v5, v7, v5, v8
	v_lshlrev_b64 v[7:8], 2, v[5:6]
	v_mul_lo_u32 v5, v0, s11
	v_add_co_u32_e32 v7, vcc, s6, v7
	v_addc_co_u32_e32 v8, vcc, v9, v8, vcc
	v_lshlrev_b64 v[5:6], 2, v[5:6]
	v_add_co_u32_e32 v5, vcc, v7, v5
	v_addc_co_u32_e32 v6, vcc, v8, v6, vcc
	global_load_dword v5, v[5:6], off
.LBB64_3:
	v_mul_hi_u32 v6, s19, v4
	v_mul_hi_u32 v7, s22, v3
	;; [unrolled: 1-line block ×4, first 2 shown]
	v_add_u32_e32 v6, v4, v6
	v_add_u32_e32 v7, v3, v7
	v_add_u32_e32 v8, v1, v8
	v_lshrrev_b32_e32 v6, s20, v6
	v_lshrrev_b32_e32 v7, s23, v7
	;; [unrolled: 1-line block ×3, first 2 shown]
	v_mul_lo_u32 v6, v6, s21
	v_mul_lo_u32 v7, v7, s24
	;; [unrolled: 1-line block ×3, first 2 shown]
	v_add_u32_e32 v9, v0, v9
	v_sub_u32_e32 v6, v4, v6
	v_sub_u32_e32 v7, v3, v7
	;; [unrolled: 1-line block ×3, first 2 shown]
	v_lshrrev_b32_e32 v9, s17, v9
	v_mul_lo_u32 v8, v8, s2
	v_mul_lo_u32 v7, v7, s1
	v_mul_lo_u32 v6, v6, s0
	v_mul_lo_u32 v9, v9, s18
	v_mul_lo_u32 v13, v4, s8
	v_add3_u32 v6, v7, v8, v6
	v_sub_u32_e32 v7, v0, v9
	v_mul_lo_u32 v7, v7, s15
	s_load_dwordx2 s[0:1], s[4:5], 0xd8
	s_load_dwordx8 s[12:19], s[4:5], 0xb8
	v_ashrrev_i32_e32 v8, 31, v6
	v_ashrrev_i32_e32 v9, 31, v7
	v_add_co_u32_e32 v6, vcc, v7, v6
	v_addc_co_u32_e32 v7, vcc, v9, v8, vcc
	v_lshlrev_b64 v[6:7], 2, v[6:7]
	s_waitcnt lgkmcnt(0)
	v_mov_b32_e32 v9, s13
	v_add_co_u32_e32 v8, vcc, s12, v6
	v_addc_co_u32_e32 v9, vcc, v9, v7, vcc
	global_load_dword v10, v[8:9], off
	v_mov_b32_e32 v9, s15
	v_add_co_u32_e32 v8, vcc, s14, v6
	v_addc_co_u32_e32 v9, vcc, v9, v7, vcc
	global_load_dword v11, v[8:9], off
	;; [unrolled: 4-line block ×5, first 2 shown]
	v_mul_lo_u32 v7, v1, s10
	v_mul_lo_u32 v9, v3, s9
	s_load_dwordx2 s[0:1], s[4:5], 0x10
	v_mov_b32_e32 v1, v2
	v_lshlrev_b64 v[3:4], 2, v[0:1]
	v_add3_u32 v1, v9, v7, v13
	v_lshlrev_b64 v[0:1], 2, v[1:2]
	s_waitcnt lgkmcnt(0)
	v_mov_b32_e32 v2, s1
	v_add_co_u32_e32 v0, vcc, s0, v0
	v_addc_co_u32_e32 v1, vcc, v2, v1, vcc
	v_add_co_u32_e32 v0, vcc, v0, v3
	v_addc_co_u32_e32 v1, vcc, v1, v4, vcc
	s_waitcnt vmcnt(4)
	v_add_f32_e32 v2, v5, v10
	s_waitcnt vmcnt(3)
	v_add_f32_e32 v2, v2, v11
	s_waitcnt vmcnt(2)
	v_add_f32_e32 v2, v2, v12
	s_waitcnt vmcnt(1)
	v_add_f32_e32 v2, v2, v8
	s_waitcnt vmcnt(0)
	v_add_f32_e32 v2, v2, v6
	global_store_dword v[0:1], v2, off
.LBB64_4:
	s_endpgm
	.section	.rodata,"a",@progbits
	.p2align	6, 0x0
	.amdhsa_kernel _ZL19k_bin_bcast_unravelIXadL_ZL6op_addffEEfffJPKfS1_S1_S1_S1_EEvPKT0_PKT1_PT2_15HIP_vector_typeIjLj3EESB_SB_jSB_SB_SB_SB_SB_SB_iiiiiiiiiiiDpT3_
		.amdhsa_group_segment_fixed_size 0
		.amdhsa_private_segment_fixed_size 0
		.amdhsa_kernarg_size 480
		.amdhsa_user_sgpr_count 6
		.amdhsa_user_sgpr_private_segment_buffer 1
		.amdhsa_user_sgpr_dispatch_ptr 0
		.amdhsa_user_sgpr_queue_ptr 0
		.amdhsa_user_sgpr_kernarg_segment_ptr 1
		.amdhsa_user_sgpr_dispatch_id 0
		.amdhsa_user_sgpr_flat_scratch_init 0
		.amdhsa_user_sgpr_private_segment_size 0
		.amdhsa_uses_dynamic_stack 0
		.amdhsa_system_sgpr_private_segment_wavefront_offset 0
		.amdhsa_system_sgpr_workgroup_id_x 1
		.amdhsa_system_sgpr_workgroup_id_y 0
		.amdhsa_system_sgpr_workgroup_id_z 0
		.amdhsa_system_sgpr_workgroup_info 0
		.amdhsa_system_vgpr_workitem_id 0
		.amdhsa_next_free_vgpr 14
		.amdhsa_next_free_sgpr 28
		.amdhsa_reserve_vcc 1
		.amdhsa_reserve_flat_scratch 0
		.amdhsa_float_round_mode_32 0
		.amdhsa_float_round_mode_16_64 0
		.amdhsa_float_denorm_mode_32 3
		.amdhsa_float_denorm_mode_16_64 3
		.amdhsa_dx10_clamp 1
		.amdhsa_ieee_mode 1
		.amdhsa_fp16_overflow 0
		.amdhsa_exception_fp_ieee_invalid_op 0
		.amdhsa_exception_fp_denorm_src 0
		.amdhsa_exception_fp_ieee_div_zero 0
		.amdhsa_exception_fp_ieee_overflow 0
		.amdhsa_exception_fp_ieee_underflow 0
		.amdhsa_exception_fp_ieee_inexact 0
		.amdhsa_exception_int_div_zero 0
	.end_amdhsa_kernel
	.section	.text._ZL19k_bin_bcast_unravelIXadL_ZL6op_addffEEfffJPKfS1_S1_S1_S1_EEvPKT0_PKT1_PT2_15HIP_vector_typeIjLj3EESB_SB_jSB_SB_SB_SB_SB_SB_iiiiiiiiiiiDpT3_,"axG",@progbits,_ZL19k_bin_bcast_unravelIXadL_ZL6op_addffEEfffJPKfS1_S1_S1_S1_EEvPKT0_PKT1_PT2_15HIP_vector_typeIjLj3EESB_SB_jSB_SB_SB_SB_SB_SB_iiiiiiiiiiiDpT3_,comdat
.Lfunc_end64:
	.size	_ZL19k_bin_bcast_unravelIXadL_ZL6op_addffEEfffJPKfS1_S1_S1_S1_EEvPKT0_PKT1_PT2_15HIP_vector_typeIjLj3EESB_SB_jSB_SB_SB_SB_SB_SB_iiiiiiiiiiiDpT3_, .Lfunc_end64-_ZL19k_bin_bcast_unravelIXadL_ZL6op_addffEEfffJPKfS1_S1_S1_S1_EEvPKT0_PKT1_PT2_15HIP_vector_typeIjLj3EESB_SB_jSB_SB_SB_SB_SB_SB_iiiiiiiiiiiDpT3_
                                        ; -- End function
	.set _ZL19k_bin_bcast_unravelIXadL_ZL6op_addffEEfffJPKfS1_S1_S1_S1_EEvPKT0_PKT1_PT2_15HIP_vector_typeIjLj3EESB_SB_jSB_SB_SB_SB_SB_SB_iiiiiiiiiiiDpT3_.num_vgpr, 14
	.set _ZL19k_bin_bcast_unravelIXadL_ZL6op_addffEEfffJPKfS1_S1_S1_S1_EEvPKT0_PKT1_PT2_15HIP_vector_typeIjLj3EESB_SB_jSB_SB_SB_SB_SB_SB_iiiiiiiiiiiDpT3_.num_agpr, 0
	.set _ZL19k_bin_bcast_unravelIXadL_ZL6op_addffEEfffJPKfS1_S1_S1_S1_EEvPKT0_PKT1_PT2_15HIP_vector_typeIjLj3EESB_SB_jSB_SB_SB_SB_SB_SB_iiiiiiiiiiiDpT3_.numbered_sgpr, 28
	.set _ZL19k_bin_bcast_unravelIXadL_ZL6op_addffEEfffJPKfS1_S1_S1_S1_EEvPKT0_PKT1_PT2_15HIP_vector_typeIjLj3EESB_SB_jSB_SB_SB_SB_SB_SB_iiiiiiiiiiiDpT3_.num_named_barrier, 0
	.set _ZL19k_bin_bcast_unravelIXadL_ZL6op_addffEEfffJPKfS1_S1_S1_S1_EEvPKT0_PKT1_PT2_15HIP_vector_typeIjLj3EESB_SB_jSB_SB_SB_SB_SB_SB_iiiiiiiiiiiDpT3_.private_seg_size, 0
	.set _ZL19k_bin_bcast_unravelIXadL_ZL6op_addffEEfffJPKfS1_S1_S1_S1_EEvPKT0_PKT1_PT2_15HIP_vector_typeIjLj3EESB_SB_jSB_SB_SB_SB_SB_SB_iiiiiiiiiiiDpT3_.uses_vcc, 1
	.set _ZL19k_bin_bcast_unravelIXadL_ZL6op_addffEEfffJPKfS1_S1_S1_S1_EEvPKT0_PKT1_PT2_15HIP_vector_typeIjLj3EESB_SB_jSB_SB_SB_SB_SB_SB_iiiiiiiiiiiDpT3_.uses_flat_scratch, 0
	.set _ZL19k_bin_bcast_unravelIXadL_ZL6op_addffEEfffJPKfS1_S1_S1_S1_EEvPKT0_PKT1_PT2_15HIP_vector_typeIjLj3EESB_SB_jSB_SB_SB_SB_SB_SB_iiiiiiiiiiiDpT3_.has_dyn_sized_stack, 0
	.set _ZL19k_bin_bcast_unravelIXadL_ZL6op_addffEEfffJPKfS1_S1_S1_S1_EEvPKT0_PKT1_PT2_15HIP_vector_typeIjLj3EESB_SB_jSB_SB_SB_SB_SB_SB_iiiiiiiiiiiDpT3_.has_recursion, 0
	.set _ZL19k_bin_bcast_unravelIXadL_ZL6op_addffEEfffJPKfS1_S1_S1_S1_EEvPKT0_PKT1_PT2_15HIP_vector_typeIjLj3EESB_SB_jSB_SB_SB_SB_SB_SB_iiiiiiiiiiiDpT3_.has_indirect_call, 0
	.section	.AMDGPU.csdata,"",@progbits
; Kernel info:
; codeLenInByte = 768
; TotalNumSgprs: 32
; NumVgprs: 14
; ScratchSize: 0
; MemoryBound: 0
; FloatMode: 240
; IeeeMode: 1
; LDSByteSize: 0 bytes/workgroup (compile time only)
; SGPRBlocks: 3
; VGPRBlocks: 3
; NumSGPRsForWavesPerEU: 32
; NumVGPRsForWavesPerEU: 14
; Occupancy: 10
; WaveLimiterHint : 1
; COMPUTE_PGM_RSRC2:SCRATCH_EN: 0
; COMPUTE_PGM_RSRC2:USER_SGPR: 6
; COMPUTE_PGM_RSRC2:TRAP_HANDLER: 0
; COMPUTE_PGM_RSRC2:TGID_X_EN: 1
; COMPUTE_PGM_RSRC2:TGID_Y_EN: 0
; COMPUTE_PGM_RSRC2:TGID_Z_EN: 0
; COMPUTE_PGM_RSRC2:TIDIG_COMP_CNT: 0
	.section	.text._ZL11k_bin_bcastIXadL_ZL6op_addffEEfffJPKfS1_S1_S1_S1_EEvPKT0_PKT1_PT2_iii15HIP_vector_typeIjLj3EESB_SB_SB_SB_iiiiiiiiiiiDpT3_,"axG",@progbits,_ZL11k_bin_bcastIXadL_ZL6op_addffEEfffJPKfS1_S1_S1_S1_EEvPKT0_PKT1_PT2_iii15HIP_vector_typeIjLj3EESB_SB_SB_SB_iiiiiiiiiiiDpT3_,comdat
	.globl	_ZL11k_bin_bcastIXadL_ZL6op_addffEEfffJPKfS1_S1_S1_S1_EEvPKT0_PKT1_PT2_iii15HIP_vector_typeIjLj3EESB_SB_SB_SB_iiiiiiiiiiiDpT3_ ; -- Begin function _ZL11k_bin_bcastIXadL_ZL6op_addffEEfffJPKfS1_S1_S1_S1_EEvPKT0_PKT1_PT2_iii15HIP_vector_typeIjLj3EESB_SB_SB_SB_iiiiiiiiiiiDpT3_
	.p2align	8
	.type	_ZL11k_bin_bcastIXadL_ZL6op_addffEEfffJPKfS1_S1_S1_S1_EEvPKT0_PKT1_PT2_iii15HIP_vector_typeIjLj3EESB_SB_SB_SB_iiiiiiiiiiiDpT3_,@function
_ZL11k_bin_bcastIXadL_ZL6op_addffEEfffJPKfS1_S1_S1_S1_EEvPKT0_PKT1_PT2_iii15HIP_vector_typeIjLj3EESB_SB_SB_SB_iiiiiiiiiiiDpT3_: ; @_ZL11k_bin_bcastIXadL_ZL6op_addffEEfffJPKfS1_S1_S1_S1_EEvPKT0_PKT1_PT2_iii15HIP_vector_typeIjLj3EESB_SB_SB_SB_iiiiiiiiiiiDpT3_
; %bb.0:
	s_load_dwordx2 s[0:1], s[4:5], 0xc4
	s_load_dwordx8 s[12:19], s[4:5], 0x18
	s_add_u32 s2, s4, 0xb8
	s_addc_u32 s3, s5, 0
	s_waitcnt lgkmcnt(0)
	s_and_b32 s1, s1, 0xffff
	s_mul_i32 s8, s8, s1
	v_add_u32_e32 v3, s8, v2
	v_mul_hi_u32 v2, v3, s15
	s_lshr_b32 s1, s0, 16
	s_and_b32 s8, s0, 0xffff
	s_mul_i32 s6, s6, s8
	v_add_u32_e32 v2, v3, v2
	v_lshrrev_b32_e32 v2, s16, v2
	v_mul_lo_u32 v4, v2, s17
	s_mul_i32 s7, s7, s1
	v_add_u32_e32 v0, s6, v0
	v_add_u32_e32 v1, s7, v1
	v_cmp_gt_u32_e32 vcc, s12, v0
	v_cmp_gt_u32_e64 s[0:1], s13, v1
	v_sub_u32_e32 v3, v3, v4
	s_and_b64 s[0:1], vcc, s[0:1]
	v_cmp_gt_u32_e32 vcc, s14, v2
	s_and_b64 s[0:1], s[0:1], vcc
	v_cmp_gt_u32_e32 vcc, s17, v3
	s_and_b64 s[0:1], s[0:1], vcc
	s_and_saveexec_b64 s[6:7], s[0:1]
	s_cbranch_execz .LBB65_6
; %bb.1:
	v_cmp_gt_i32_e32 vcc, s12, v0
	s_and_b64 exec, exec, vcc
	s_cbranch_execz .LBB65_6
; %bb.2:
	s_load_dwordx8 s[36:43], s[4:5], 0x3c
	s_load_dwordx8 s[20:27], s[4:5], 0x60
	s_load_dwordx4 s[28:31], s[4:5], 0x80
	s_load_dword s9, s[2:3], 0x0
	s_load_dword s0, s[4:5], 0x5c
	s_waitcnt lgkmcnt(0)
	v_mul_hi_u32 v4, s36, v1
	v_mul_hi_u32 v5, s39, v2
	;; [unrolled: 1-line block ×3, first 2 shown]
	v_mul_lo_u32 v7, v3, s26
	v_add_u32_e32 v4, v1, v4
	v_add_u32_e32 v5, v2, v5
	;; [unrolled: 1-line block ×3, first 2 shown]
	v_lshrrev_b32_e32 v4, s37, v4
	v_lshrrev_b32_e32 v5, s40, v5
	;; [unrolled: 1-line block ×3, first 2 shown]
	v_mul_lo_u32 v4, v4, s38
	v_mul_lo_u32 v5, v5, s41
	;; [unrolled: 1-line block ×5, first 2 shown]
	v_sub_u32_e32 v4, v1, v4
	v_sub_u32_e32 v5, v2, v5
	;; [unrolled: 1-line block ×3, first 2 shown]
	s_load_dword s10, s[4:5], 0x38
	s_load_dwordx2 s[0:1], s[4:5], 0x0
	s_load_dwordx2 s[2:3], s[4:5], 0x10
	v_mul_lo_u32 v6, v6, s30
	v_mul_lo_u32 v5, v5, s29
	;; [unrolled: 1-line block ×6, first 2 shown]
	v_add3_u32 v1, v8, v9, v7
	v_mov_b32_e32 v2, 0
	v_mov_b32_e32 v8, v2
	v_lshlrev_b64 v[1:2], 2, v[1:2]
	v_add3_u32 v4, v5, v6, v4
	v_add3_u32 v7, v10, v11, v3
	s_waitcnt lgkmcnt(0)
	v_mov_b32_e32 v3, s1
	v_add_co_u32_e32 v5, vcc, s0, v1
	v_addc_co_u32_e32 v6, vcc, v3, v2, vcc
	v_lshlrev_b64 v[1:2], 2, v[7:8]
	s_load_dwordx2 s[6:7], s[4:5], 0xb0
	s_load_dwordx8 s[36:43], s[4:5], 0x90
	v_mov_b32_e32 v3, s3
	v_add_co_u32_e32 v7, vcc, s2, v1
	v_addc_co_u32_e32 v8, vcc, v3, v2, vcc
	s_cmp_lg_u64 s[0:1], 0
	v_mul_lo_u32 v2, s23, v0
	s_cselect_b64 s[0:1], -1, 0
	s_mul_i32 s8, s9, s8
	v_cndmask_b32_e64 v1, 0, 1, s[0:1]
	s_mov_b64 s[4:5], 0
	s_mul_i32 s9, s8, s23
	s_sub_i32 s10, 0, s10
	v_cmp_ne_u32_e64 s[0:1], 1, v1
	s_waitcnt lgkmcnt(0)
	v_mov_b32_e32 v9, s37
	v_mov_b32_e32 v10, s39
	;; [unrolled: 1-line block ×5, first 2 shown]
	s_branch .LBB65_4
.LBB65_3:                               ;   in Loop: Header=BB65_4 Depth=1
	v_mul_hi_u32 v1, s18, v0
	v_add_u32_e32 v2, s9, v2
	v_add_u32_e32 v1, v0, v1
	v_lshrrev_b32_e32 v1, s19, v1
	v_mad_u64_u32 v[14:15], s[2:3], s10, v1, v[0:1]
	v_mul_lo_u32 v1, v14, s27
	v_add_co_u32_e32 v14, vcc, v1, v4
	v_addc_co_u32_e64 v15, s[2:3], 0, 0, vcc
	v_lshlrev_b64 v[14:15], 2, v[14:15]
	v_ashrrev_i32_e32 v1, 31, v0
	v_add_co_u32_e32 v16, vcc, s36, v14
	v_addc_co_u32_e32 v17, vcc, v9, v15, vcc
	v_add_co_u32_e32 v18, vcc, s38, v14
	v_addc_co_u32_e32 v19, vcc, v10, v15, vcc
	v_add_co_u32_e32 v20, vcc, s40, v14
	v_addc_co_u32_e32 v21, vcc, v11, v15, vcc
	v_add_co_u32_e32 v22, vcc, s42, v14
	v_addc_co_u32_e32 v23, vcc, v12, v15, vcc
	v_add_co_u32_e32 v14, vcc, s6, v14
	v_addc_co_u32_e32 v15, vcc, v13, v15, vcc
	global_load_dword v24, v[16:17], off
	global_load_dword v25, v[18:19], off
	;; [unrolled: 1-line block ×5, first 2 shown]
	v_lshlrev_b64 v[14:15], 2, v[0:1]
	v_add_u32_e32 v0, s8, v0
	v_cmp_le_i32_e32 vcc, s12, v0
	v_add_co_u32_e64 v14, s[2:3], v7, v14
	v_addc_co_u32_e64 v15, s[2:3], v8, v15, s[2:3]
	s_or_b64 s[4:5], vcc, s[4:5]
	s_waitcnt vmcnt(4)
	v_add_f32_e32 v1, v3, v24
	s_waitcnt vmcnt(3)
	v_add_f32_e32 v1, v1, v25
	;; [unrolled: 2-line block ×5, first 2 shown]
	global_store_dword v[14:15], v1, off
	s_andn2_b64 exec, exec, s[4:5]
	s_cbranch_execz .LBB65_6
.LBB65_4:                               ; =>This Inner Loop Header: Depth=1
	s_and_b64 vcc, exec, s[0:1]
	v_mov_b32_e32 v3, 0
	s_cbranch_vccnz .LBB65_3
; %bb.5:                                ;   in Loop: Header=BB65_4 Depth=1
	v_ashrrev_i32_e32 v3, 31, v2
	v_lshlrev_b64 v[14:15], 2, v[2:3]
	v_add_co_u32_e32 v14, vcc, v5, v14
	v_addc_co_u32_e32 v15, vcc, v6, v15, vcc
	global_load_dword v3, v[14:15], off
	s_branch .LBB65_3
.LBB65_6:
	s_endpgm
	.section	.rodata,"a",@progbits
	.p2align	6, 0x0
	.amdhsa_kernel _ZL11k_bin_bcastIXadL_ZL6op_addffEEfffJPKfS1_S1_S1_S1_EEvPKT0_PKT1_PT2_iii15HIP_vector_typeIjLj3EESB_SB_SB_SB_iiiiiiiiiiiDpT3_
		.amdhsa_group_segment_fixed_size 0
		.amdhsa_private_segment_fixed_size 0
		.amdhsa_kernarg_size 440
		.amdhsa_user_sgpr_count 6
		.amdhsa_user_sgpr_private_segment_buffer 1
		.amdhsa_user_sgpr_dispatch_ptr 0
		.amdhsa_user_sgpr_queue_ptr 0
		.amdhsa_user_sgpr_kernarg_segment_ptr 1
		.amdhsa_user_sgpr_dispatch_id 0
		.amdhsa_user_sgpr_flat_scratch_init 0
		.amdhsa_user_sgpr_private_segment_size 0
		.amdhsa_uses_dynamic_stack 0
		.amdhsa_system_sgpr_private_segment_wavefront_offset 0
		.amdhsa_system_sgpr_workgroup_id_x 1
		.amdhsa_system_sgpr_workgroup_id_y 1
		.amdhsa_system_sgpr_workgroup_id_z 1
		.amdhsa_system_sgpr_workgroup_info 0
		.amdhsa_system_vgpr_workitem_id 2
		.amdhsa_next_free_vgpr 29
		.amdhsa_next_free_sgpr 44
		.amdhsa_reserve_vcc 1
		.amdhsa_reserve_flat_scratch 0
		.amdhsa_float_round_mode_32 0
		.amdhsa_float_round_mode_16_64 0
		.amdhsa_float_denorm_mode_32 3
		.amdhsa_float_denorm_mode_16_64 3
		.amdhsa_dx10_clamp 1
		.amdhsa_ieee_mode 1
		.amdhsa_fp16_overflow 0
		.amdhsa_exception_fp_ieee_invalid_op 0
		.amdhsa_exception_fp_denorm_src 0
		.amdhsa_exception_fp_ieee_div_zero 0
		.amdhsa_exception_fp_ieee_overflow 0
		.amdhsa_exception_fp_ieee_underflow 0
		.amdhsa_exception_fp_ieee_inexact 0
		.amdhsa_exception_int_div_zero 0
	.end_amdhsa_kernel
	.section	.text._ZL11k_bin_bcastIXadL_ZL6op_addffEEfffJPKfS1_S1_S1_S1_EEvPKT0_PKT1_PT2_iii15HIP_vector_typeIjLj3EESB_SB_SB_SB_iiiiiiiiiiiDpT3_,"axG",@progbits,_ZL11k_bin_bcastIXadL_ZL6op_addffEEfffJPKfS1_S1_S1_S1_EEvPKT0_PKT1_PT2_iii15HIP_vector_typeIjLj3EESB_SB_SB_SB_iiiiiiiiiiiDpT3_,comdat
.Lfunc_end65:
	.size	_ZL11k_bin_bcastIXadL_ZL6op_addffEEfffJPKfS1_S1_S1_S1_EEvPKT0_PKT1_PT2_iii15HIP_vector_typeIjLj3EESB_SB_SB_SB_iiiiiiiiiiiDpT3_, .Lfunc_end65-_ZL11k_bin_bcastIXadL_ZL6op_addffEEfffJPKfS1_S1_S1_S1_EEvPKT0_PKT1_PT2_iii15HIP_vector_typeIjLj3EESB_SB_SB_SB_iiiiiiiiiiiDpT3_
                                        ; -- End function
	.set _ZL11k_bin_bcastIXadL_ZL6op_addffEEfffJPKfS1_S1_S1_S1_EEvPKT0_PKT1_PT2_iii15HIP_vector_typeIjLj3EESB_SB_SB_SB_iiiiiiiiiiiDpT3_.num_vgpr, 29
	.set _ZL11k_bin_bcastIXadL_ZL6op_addffEEfffJPKfS1_S1_S1_S1_EEvPKT0_PKT1_PT2_iii15HIP_vector_typeIjLj3EESB_SB_SB_SB_iiiiiiiiiiiDpT3_.num_agpr, 0
	.set _ZL11k_bin_bcastIXadL_ZL6op_addffEEfffJPKfS1_S1_S1_S1_EEvPKT0_PKT1_PT2_iii15HIP_vector_typeIjLj3EESB_SB_SB_SB_iiiiiiiiiiiDpT3_.numbered_sgpr, 44
	.set _ZL11k_bin_bcastIXadL_ZL6op_addffEEfffJPKfS1_S1_S1_S1_EEvPKT0_PKT1_PT2_iii15HIP_vector_typeIjLj3EESB_SB_SB_SB_iiiiiiiiiiiDpT3_.num_named_barrier, 0
	.set _ZL11k_bin_bcastIXadL_ZL6op_addffEEfffJPKfS1_S1_S1_S1_EEvPKT0_PKT1_PT2_iii15HIP_vector_typeIjLj3EESB_SB_SB_SB_iiiiiiiiiiiDpT3_.private_seg_size, 0
	.set _ZL11k_bin_bcastIXadL_ZL6op_addffEEfffJPKfS1_S1_S1_S1_EEvPKT0_PKT1_PT2_iii15HIP_vector_typeIjLj3EESB_SB_SB_SB_iiiiiiiiiiiDpT3_.uses_vcc, 1
	.set _ZL11k_bin_bcastIXadL_ZL6op_addffEEfffJPKfS1_S1_S1_S1_EEvPKT0_PKT1_PT2_iii15HIP_vector_typeIjLj3EESB_SB_SB_SB_iiiiiiiiiiiDpT3_.uses_flat_scratch, 0
	.set _ZL11k_bin_bcastIXadL_ZL6op_addffEEfffJPKfS1_S1_S1_S1_EEvPKT0_PKT1_PT2_iii15HIP_vector_typeIjLj3EESB_SB_SB_SB_iiiiiiiiiiiDpT3_.has_dyn_sized_stack, 0
	.set _ZL11k_bin_bcastIXadL_ZL6op_addffEEfffJPKfS1_S1_S1_S1_EEvPKT0_PKT1_PT2_iii15HIP_vector_typeIjLj3EESB_SB_SB_SB_iiiiiiiiiiiDpT3_.has_recursion, 0
	.set _ZL11k_bin_bcastIXadL_ZL6op_addffEEfffJPKfS1_S1_S1_S1_EEvPKT0_PKT1_PT2_iii15HIP_vector_typeIjLj3EESB_SB_SB_SB_iiiiiiiiiiiDpT3_.has_indirect_call, 0
	.section	.AMDGPU.csdata,"",@progbits
; Kernel info:
; codeLenInByte = 828
; TotalNumSgprs: 48
; NumVgprs: 29
; ScratchSize: 0
; MemoryBound: 0
; FloatMode: 240
; IeeeMode: 1
; LDSByteSize: 0 bytes/workgroup (compile time only)
; SGPRBlocks: 5
; VGPRBlocks: 7
; NumSGPRsForWavesPerEU: 48
; NumVGPRsForWavesPerEU: 29
; Occupancy: 8
; WaveLimiterHint : 1
; COMPUTE_PGM_RSRC2:SCRATCH_EN: 0
; COMPUTE_PGM_RSRC2:USER_SGPR: 6
; COMPUTE_PGM_RSRC2:TRAP_HANDLER: 0
; COMPUTE_PGM_RSRC2:TGID_X_EN: 1
; COMPUTE_PGM_RSRC2:TGID_Y_EN: 1
; COMPUTE_PGM_RSRC2:TGID_Z_EN: 1
; COMPUTE_PGM_RSRC2:TIDIG_COMP_CNT: 2
	.section	.text._ZL19k_bin_bcast_unravelIXadL_ZL6op_addffEE6__halfS0_S0_JPKS0_S2_S2_S2_S2_EEvPKT0_PKT1_PT2_15HIP_vector_typeIjLj3EESC_SC_jSC_SC_SC_SC_SC_SC_iiiiiiiiiiiDpT3_,"axG",@progbits,_ZL19k_bin_bcast_unravelIXadL_ZL6op_addffEE6__halfS0_S0_JPKS0_S2_S2_S2_S2_EEvPKT0_PKT1_PT2_15HIP_vector_typeIjLj3EESC_SC_jSC_SC_SC_SC_SC_SC_iiiiiiiiiiiDpT3_,comdat
	.globl	_ZL19k_bin_bcast_unravelIXadL_ZL6op_addffEE6__halfS0_S0_JPKS0_S2_S2_S2_S2_EEvPKT0_PKT1_PT2_15HIP_vector_typeIjLj3EESC_SC_jSC_SC_SC_SC_SC_SC_iiiiiiiiiiiDpT3_ ; -- Begin function _ZL19k_bin_bcast_unravelIXadL_ZL6op_addffEE6__halfS0_S0_JPKS0_S2_S2_S2_S2_EEvPKT0_PKT1_PT2_15HIP_vector_typeIjLj3EESC_SC_jSC_SC_SC_SC_SC_SC_iiiiiiiiiiiDpT3_
	.p2align	8
	.type	_ZL19k_bin_bcast_unravelIXadL_ZL6op_addffEE6__halfS0_S0_JPKS0_S2_S2_S2_S2_EEvPKT0_PKT1_PT2_15HIP_vector_typeIjLj3EESC_SC_jSC_SC_SC_SC_SC_SC_iiiiiiiiiiiDpT3_,@function
_ZL19k_bin_bcast_unravelIXadL_ZL6op_addffEE6__halfS0_S0_JPKS0_S2_S2_S2_S2_EEvPKT0_PKT1_PT2_15HIP_vector_typeIjLj3EESC_SC_jSC_SC_SC_SC_SC_SC_iiiiiiiiiiiDpT3_: ; @_ZL19k_bin_bcast_unravelIXadL_ZL6op_addffEE6__halfS0_S0_JPKS0_S2_S2_S2_S2_EEvPKT0_PKT1_PT2_15HIP_vector_typeIjLj3EESC_SC_jSC_SC_SC_SC_SC_SC_iiiiiiiiiiiDpT3_
; %bb.0:
	s_load_dword s0, s[4:5], 0xec
	s_load_dwordx8 s[8:15], s[4:5], 0x38
	s_waitcnt lgkmcnt(0)
	s_and_b32 s0, s0, 0xffff
	s_mul_i32 s6, s6, s0
	v_add_u32_e32 v0, s6, v0
	v_mul_hi_u32 v1, v0, s10
	s_load_dwordx4 s[0:3], s[4:5], 0x18
	s_waitcnt lgkmcnt(0)
	s_load_dword s3, s[4:5], 0x2c
	v_add_u32_e32 v1, v0, v1
	v_lshrrev_b32_e32 v1, s11, v1
	v_mul_lo_u32 v2, v1, s12
	v_sub_u32_e32 v0, v0, v2
	v_mul_hi_u32 v2, v0, s13
	v_add_u32_e32 v2, v0, v2
	v_lshrrev_b32_e32 v3, s14, v2
	v_mul_lo_u32 v2, v3, s15
	v_cmp_gt_u32_e32 vcc, s8, v3
	v_sub_u32_e32 v0, v0, v2
	v_mul_hi_u32 v2, v0, s0
	v_add_u32_e32 v2, v0, v2
	v_lshrrev_b32_e32 v4, s1, v2
	v_mul_lo_u32 v2, v4, s2
	s_waitcnt lgkmcnt(0)
	v_cmp_gt_u32_e64 s[0:1], s3, v4
	v_sub_u32_e32 v0, v0, v2
	v_cmp_gt_u32_e64 s[2:3], s2, v0
	s_and_b64 s[0:1], s[2:3], s[0:1]
	s_and_b64 s[0:1], s[0:1], vcc
	v_cmp_gt_u32_e32 vcc, s9, v1
	s_and_b64 s[0:1], vcc, s[0:1]
	s_and_saveexec_b64 s[2:3], s[0:1]
	s_cbranch_execz .LBB66_4
; %bb.1:
	s_load_dwordx2 s[6:7], s[4:5], 0x0
	s_load_dwordx4 s[0:3], s[4:5], 0xa8
	s_load_dwordx8 s[8:15], s[4:5], 0x88
	s_load_dwordx4 s[24:27], s[4:5], 0x78
	s_load_dwordx8 s[16:23], s[4:5], 0x58
	v_mov_b32_e32 v2, 0
	s_waitcnt lgkmcnt(0)
	s_cmp_eq_u64 s[6:7], 0
	v_mov_b32_e32 v5, 0
	s_cbranch_scc1 .LBB66_3
; %bb.2:
	v_mul_lo_u32 v5, v1, s14
	v_mul_lo_u32 v7, v3, s13
	;; [unrolled: 1-line block ×3, first 2 shown]
	v_mov_b32_e32 v6, 0
	v_mov_b32_e32 v9, s7
	v_add3_u32 v5, v7, v5, v8
	v_lshlrev_b64 v[7:8], 1, v[5:6]
	v_mul_lo_u32 v5, v0, s11
	v_add_co_u32_e32 v7, vcc, s6, v7
	v_addc_co_u32_e32 v8, vcc, v9, v8, vcc
	v_lshlrev_b64 v[5:6], 1, v[5:6]
	v_add_co_u32_e32 v5, vcc, v7, v5
	v_addc_co_u32_e32 v6, vcc, v8, v6, vcc
	global_load_ushort v5, v[5:6], off
	s_waitcnt vmcnt(0)
	v_cvt_f32_f16_e32 v5, v5
.LBB66_3:
	v_mul_hi_u32 v6, s19, v4
	v_mul_hi_u32 v7, s22, v3
	;; [unrolled: 1-line block ×4, first 2 shown]
	v_add_u32_e32 v6, v4, v6
	v_add_u32_e32 v7, v3, v7
	;; [unrolled: 1-line block ×3, first 2 shown]
	v_lshrrev_b32_e32 v6, s20, v6
	v_lshrrev_b32_e32 v7, s23, v7
	;; [unrolled: 1-line block ×3, first 2 shown]
	v_mul_lo_u32 v6, v6, s21
	v_mul_lo_u32 v7, v7, s24
	;; [unrolled: 1-line block ×3, first 2 shown]
	v_add_u32_e32 v9, v0, v9
	v_sub_u32_e32 v6, v4, v6
	v_sub_u32_e32 v7, v3, v7
	;; [unrolled: 1-line block ×3, first 2 shown]
	v_lshrrev_b32_e32 v9, s17, v9
	v_mul_lo_u32 v8, v8, s2
	v_mul_lo_u32 v7, v7, s1
	;; [unrolled: 1-line block ×5, first 2 shown]
	v_add3_u32 v6, v7, v8, v6
	v_sub_u32_e32 v7, v0, v9
	v_mul_lo_u32 v7, v7, s15
	s_load_dwordx2 s[0:1], s[4:5], 0xd8
	s_load_dwordx8 s[12:19], s[4:5], 0xb8
	v_ashrrev_i32_e32 v8, 31, v6
	v_ashrrev_i32_e32 v9, 31, v7
	v_add_co_u32_e32 v6, vcc, v7, v6
	v_addc_co_u32_e32 v7, vcc, v9, v8, vcc
	v_lshlrev_b64 v[6:7], 1, v[6:7]
	s_waitcnt lgkmcnt(0)
	v_mov_b32_e32 v9, s13
	v_add_co_u32_e32 v8, vcc, s12, v6
	v_addc_co_u32_e32 v9, vcc, v9, v7, vcc
	global_load_ushort v10, v[8:9], off
	v_mov_b32_e32 v9, s15
	v_add_co_u32_e32 v8, vcc, s14, v6
	v_addc_co_u32_e32 v9, vcc, v9, v7, vcc
	global_load_ushort v11, v[8:9], off
	;; [unrolled: 4-line block ×5, first 2 shown]
	v_mul_lo_u32 v7, v1, s10
	v_mul_lo_u32 v9, v3, s9
	s_load_dwordx2 s[0:1], s[4:5], 0x10
	v_mov_b32_e32 v1, v2
	v_lshlrev_b64 v[3:4], 1, v[0:1]
	v_add3_u32 v1, v9, v7, v13
	v_lshlrev_b64 v[0:1], 1, v[1:2]
	s_waitcnt lgkmcnt(0)
	v_mov_b32_e32 v2, s1
	v_add_co_u32_e32 v0, vcc, s0, v0
	v_addc_co_u32_e32 v1, vcc, v2, v1, vcc
	v_add_co_u32_e32 v0, vcc, v0, v3
	v_addc_co_u32_e32 v1, vcc, v1, v4, vcc
	s_waitcnt vmcnt(4)
	v_cvt_f32_f16_e32 v2, v10
	v_add_f32_e32 v2, v5, v2
	s_waitcnt vmcnt(3)
	v_cvt_f32_f16_e32 v7, v11
	v_add_f32_e32 v2, v2, v7
	s_waitcnt vmcnt(2)
	v_cvt_f32_f16_e32 v9, v12
	v_add_f32_e32 v2, v2, v9
	s_waitcnt vmcnt(1)
	v_cvt_f32_f16_e32 v8, v8
	v_add_f32_e32 v2, v2, v8
	s_waitcnt vmcnt(0)
	v_cvt_f32_f16_e32 v6, v6
	v_add_f32_e32 v2, v2, v6
	v_cvt_f16_f32_e32 v2, v2
	global_store_short v[0:1], v2, off
.LBB66_4:
	s_endpgm
	.section	.rodata,"a",@progbits
	.p2align	6, 0x0
	.amdhsa_kernel _ZL19k_bin_bcast_unravelIXadL_ZL6op_addffEE6__halfS0_S0_JPKS0_S2_S2_S2_S2_EEvPKT0_PKT1_PT2_15HIP_vector_typeIjLj3EESC_SC_jSC_SC_SC_SC_SC_SC_iiiiiiiiiiiDpT3_
		.amdhsa_group_segment_fixed_size 0
		.amdhsa_private_segment_fixed_size 0
		.amdhsa_kernarg_size 480
		.amdhsa_user_sgpr_count 6
		.amdhsa_user_sgpr_private_segment_buffer 1
		.amdhsa_user_sgpr_dispatch_ptr 0
		.amdhsa_user_sgpr_queue_ptr 0
		.amdhsa_user_sgpr_kernarg_segment_ptr 1
		.amdhsa_user_sgpr_dispatch_id 0
		.amdhsa_user_sgpr_flat_scratch_init 0
		.amdhsa_user_sgpr_private_segment_size 0
		.amdhsa_uses_dynamic_stack 0
		.amdhsa_system_sgpr_private_segment_wavefront_offset 0
		.amdhsa_system_sgpr_workgroup_id_x 1
		.amdhsa_system_sgpr_workgroup_id_y 0
		.amdhsa_system_sgpr_workgroup_id_z 0
		.amdhsa_system_sgpr_workgroup_info 0
		.amdhsa_system_vgpr_workitem_id 0
		.amdhsa_next_free_vgpr 14
		.amdhsa_next_free_sgpr 28
		.amdhsa_reserve_vcc 1
		.amdhsa_reserve_flat_scratch 0
		.amdhsa_float_round_mode_32 0
		.amdhsa_float_round_mode_16_64 0
		.amdhsa_float_denorm_mode_32 3
		.amdhsa_float_denorm_mode_16_64 3
		.amdhsa_dx10_clamp 1
		.amdhsa_ieee_mode 1
		.amdhsa_fp16_overflow 0
		.amdhsa_exception_fp_ieee_invalid_op 0
		.amdhsa_exception_fp_denorm_src 0
		.amdhsa_exception_fp_ieee_div_zero 0
		.amdhsa_exception_fp_ieee_overflow 0
		.amdhsa_exception_fp_ieee_underflow 0
		.amdhsa_exception_fp_ieee_inexact 0
		.amdhsa_exception_int_div_zero 0
	.end_amdhsa_kernel
	.section	.text._ZL19k_bin_bcast_unravelIXadL_ZL6op_addffEE6__halfS0_S0_JPKS0_S2_S2_S2_S2_EEvPKT0_PKT1_PT2_15HIP_vector_typeIjLj3EESC_SC_jSC_SC_SC_SC_SC_SC_iiiiiiiiiiiDpT3_,"axG",@progbits,_ZL19k_bin_bcast_unravelIXadL_ZL6op_addffEE6__halfS0_S0_JPKS0_S2_S2_S2_S2_EEvPKT0_PKT1_PT2_15HIP_vector_typeIjLj3EESC_SC_jSC_SC_SC_SC_SC_SC_iiiiiiiiiiiDpT3_,comdat
.Lfunc_end66:
	.size	_ZL19k_bin_bcast_unravelIXadL_ZL6op_addffEE6__halfS0_S0_JPKS0_S2_S2_S2_S2_EEvPKT0_PKT1_PT2_15HIP_vector_typeIjLj3EESC_SC_jSC_SC_SC_SC_SC_SC_iiiiiiiiiiiDpT3_, .Lfunc_end66-_ZL19k_bin_bcast_unravelIXadL_ZL6op_addffEE6__halfS0_S0_JPKS0_S2_S2_S2_S2_EEvPKT0_PKT1_PT2_15HIP_vector_typeIjLj3EESC_SC_jSC_SC_SC_SC_SC_SC_iiiiiiiiiiiDpT3_
                                        ; -- End function
	.set _ZL19k_bin_bcast_unravelIXadL_ZL6op_addffEE6__halfS0_S0_JPKS0_S2_S2_S2_S2_EEvPKT0_PKT1_PT2_15HIP_vector_typeIjLj3EESC_SC_jSC_SC_SC_SC_SC_SC_iiiiiiiiiiiDpT3_.num_vgpr, 14
	.set _ZL19k_bin_bcast_unravelIXadL_ZL6op_addffEE6__halfS0_S0_JPKS0_S2_S2_S2_S2_EEvPKT0_PKT1_PT2_15HIP_vector_typeIjLj3EESC_SC_jSC_SC_SC_SC_SC_SC_iiiiiiiiiiiDpT3_.num_agpr, 0
	.set _ZL19k_bin_bcast_unravelIXadL_ZL6op_addffEE6__halfS0_S0_JPKS0_S2_S2_S2_S2_EEvPKT0_PKT1_PT2_15HIP_vector_typeIjLj3EESC_SC_jSC_SC_SC_SC_SC_SC_iiiiiiiiiiiDpT3_.numbered_sgpr, 28
	.set _ZL19k_bin_bcast_unravelIXadL_ZL6op_addffEE6__halfS0_S0_JPKS0_S2_S2_S2_S2_EEvPKT0_PKT1_PT2_15HIP_vector_typeIjLj3EESC_SC_jSC_SC_SC_SC_SC_SC_iiiiiiiiiiiDpT3_.num_named_barrier, 0
	.set _ZL19k_bin_bcast_unravelIXadL_ZL6op_addffEE6__halfS0_S0_JPKS0_S2_S2_S2_S2_EEvPKT0_PKT1_PT2_15HIP_vector_typeIjLj3EESC_SC_jSC_SC_SC_SC_SC_SC_iiiiiiiiiiiDpT3_.private_seg_size, 0
	.set _ZL19k_bin_bcast_unravelIXadL_ZL6op_addffEE6__halfS0_S0_JPKS0_S2_S2_S2_S2_EEvPKT0_PKT1_PT2_15HIP_vector_typeIjLj3EESC_SC_jSC_SC_SC_SC_SC_SC_iiiiiiiiiiiDpT3_.uses_vcc, 1
	.set _ZL19k_bin_bcast_unravelIXadL_ZL6op_addffEE6__halfS0_S0_JPKS0_S2_S2_S2_S2_EEvPKT0_PKT1_PT2_15HIP_vector_typeIjLj3EESC_SC_jSC_SC_SC_SC_SC_SC_iiiiiiiiiiiDpT3_.uses_flat_scratch, 0
	.set _ZL19k_bin_bcast_unravelIXadL_ZL6op_addffEE6__halfS0_S0_JPKS0_S2_S2_S2_S2_EEvPKT0_PKT1_PT2_15HIP_vector_typeIjLj3EESC_SC_jSC_SC_SC_SC_SC_SC_iiiiiiiiiiiDpT3_.has_dyn_sized_stack, 0
	.set _ZL19k_bin_bcast_unravelIXadL_ZL6op_addffEE6__halfS0_S0_JPKS0_S2_S2_S2_S2_EEvPKT0_PKT1_PT2_15HIP_vector_typeIjLj3EESC_SC_jSC_SC_SC_SC_SC_SC_iiiiiiiiiiiDpT3_.has_recursion, 0
	.set _ZL19k_bin_bcast_unravelIXadL_ZL6op_addffEE6__halfS0_S0_JPKS0_S2_S2_S2_S2_EEvPKT0_PKT1_PT2_15HIP_vector_typeIjLj3EESC_SC_jSC_SC_SC_SC_SC_SC_iiiiiiiiiiiDpT3_.has_indirect_call, 0
	.section	.AMDGPU.csdata,"",@progbits
; Kernel info:
; codeLenInByte = 800
; TotalNumSgprs: 32
; NumVgprs: 14
; ScratchSize: 0
; MemoryBound: 0
; FloatMode: 240
; IeeeMode: 1
; LDSByteSize: 0 bytes/workgroup (compile time only)
; SGPRBlocks: 3
; VGPRBlocks: 3
; NumSGPRsForWavesPerEU: 32
; NumVGPRsForWavesPerEU: 14
; Occupancy: 10
; WaveLimiterHint : 1
; COMPUTE_PGM_RSRC2:SCRATCH_EN: 0
; COMPUTE_PGM_RSRC2:USER_SGPR: 6
; COMPUTE_PGM_RSRC2:TRAP_HANDLER: 0
; COMPUTE_PGM_RSRC2:TGID_X_EN: 1
; COMPUTE_PGM_RSRC2:TGID_Y_EN: 0
; COMPUTE_PGM_RSRC2:TGID_Z_EN: 0
; COMPUTE_PGM_RSRC2:TIDIG_COMP_CNT: 0
	.section	.text._ZL11k_bin_bcastIXadL_ZL6op_addffEE6__halfS0_S0_JPKS0_S2_S2_S2_S2_EEvPKT0_PKT1_PT2_iii15HIP_vector_typeIjLj3EESC_SC_SC_SC_iiiiiiiiiiiDpT3_,"axG",@progbits,_ZL11k_bin_bcastIXadL_ZL6op_addffEE6__halfS0_S0_JPKS0_S2_S2_S2_S2_EEvPKT0_PKT1_PT2_iii15HIP_vector_typeIjLj3EESC_SC_SC_SC_iiiiiiiiiiiDpT3_,comdat
	.globl	_ZL11k_bin_bcastIXadL_ZL6op_addffEE6__halfS0_S0_JPKS0_S2_S2_S2_S2_EEvPKT0_PKT1_PT2_iii15HIP_vector_typeIjLj3EESC_SC_SC_SC_iiiiiiiiiiiDpT3_ ; -- Begin function _ZL11k_bin_bcastIXadL_ZL6op_addffEE6__halfS0_S0_JPKS0_S2_S2_S2_S2_EEvPKT0_PKT1_PT2_iii15HIP_vector_typeIjLj3EESC_SC_SC_SC_iiiiiiiiiiiDpT3_
	.p2align	8
	.type	_ZL11k_bin_bcastIXadL_ZL6op_addffEE6__halfS0_S0_JPKS0_S2_S2_S2_S2_EEvPKT0_PKT1_PT2_iii15HIP_vector_typeIjLj3EESC_SC_SC_SC_iiiiiiiiiiiDpT3_,@function
_ZL11k_bin_bcastIXadL_ZL6op_addffEE6__halfS0_S0_JPKS0_S2_S2_S2_S2_EEvPKT0_PKT1_PT2_iii15HIP_vector_typeIjLj3EESC_SC_SC_SC_iiiiiiiiiiiDpT3_: ; @_ZL11k_bin_bcastIXadL_ZL6op_addffEE6__halfS0_S0_JPKS0_S2_S2_S2_S2_EEvPKT0_PKT1_PT2_iii15HIP_vector_typeIjLj3EESC_SC_SC_SC_iiiiiiiiiiiDpT3_
; %bb.0:
	s_load_dwordx2 s[0:1], s[4:5], 0xc4
	s_load_dwordx8 s[12:19], s[4:5], 0x18
	s_add_u32 s2, s4, 0xb8
	s_addc_u32 s3, s5, 0
	s_waitcnt lgkmcnt(0)
	s_and_b32 s1, s1, 0xffff
	s_mul_i32 s8, s8, s1
	v_add_u32_e32 v3, s8, v2
	v_mul_hi_u32 v2, v3, s15
	s_lshr_b32 s1, s0, 16
	s_and_b32 s8, s0, 0xffff
	s_mul_i32 s6, s6, s8
	v_add_u32_e32 v2, v3, v2
	v_lshrrev_b32_e32 v2, s16, v2
	v_mul_lo_u32 v4, v2, s17
	s_mul_i32 s7, s7, s1
	v_add_u32_e32 v0, s6, v0
	v_add_u32_e32 v1, s7, v1
	v_cmp_gt_u32_e32 vcc, s12, v0
	v_cmp_gt_u32_e64 s[0:1], s13, v1
	v_sub_u32_e32 v3, v3, v4
	s_and_b64 s[0:1], vcc, s[0:1]
	v_cmp_gt_u32_e32 vcc, s14, v2
	s_and_b64 s[0:1], s[0:1], vcc
	v_cmp_gt_u32_e32 vcc, s17, v3
	s_and_b64 s[0:1], s[0:1], vcc
	s_and_saveexec_b64 s[6:7], s[0:1]
	s_cbranch_execz .LBB67_6
; %bb.1:
	v_cmp_gt_i32_e32 vcc, s12, v0
	s_and_b64 exec, exec, vcc
	s_cbranch_execz .LBB67_6
; %bb.2:
	s_load_dwordx8 s[36:43], s[4:5], 0x3c
	s_load_dwordx8 s[20:27], s[4:5], 0x60
	s_load_dwordx4 s[28:31], s[4:5], 0x80
	s_load_dword s9, s[2:3], 0x0
	s_load_dword s0, s[4:5], 0x5c
	s_waitcnt lgkmcnt(0)
	v_mul_hi_u32 v4, s36, v1
	v_mul_hi_u32 v5, s39, v2
	;; [unrolled: 1-line block ×3, first 2 shown]
	v_mul_lo_u32 v7, v3, s26
	v_add_u32_e32 v4, v1, v4
	v_add_u32_e32 v5, v2, v5
	;; [unrolled: 1-line block ×3, first 2 shown]
	v_lshrrev_b32_e32 v4, s37, v4
	v_lshrrev_b32_e32 v5, s40, v5
	;; [unrolled: 1-line block ×3, first 2 shown]
	v_mul_lo_u32 v4, v4, s38
	v_mul_lo_u32 v5, v5, s41
	;; [unrolled: 1-line block ×5, first 2 shown]
	v_sub_u32_e32 v4, v1, v4
	v_sub_u32_e32 v5, v2, v5
	;; [unrolled: 1-line block ×3, first 2 shown]
	s_load_dword s10, s[4:5], 0x38
	s_load_dwordx2 s[0:1], s[4:5], 0x0
	s_load_dwordx2 s[2:3], s[4:5], 0x10
	v_mul_lo_u32 v6, v6, s30
	v_mul_lo_u32 v5, v5, s29
	;; [unrolled: 1-line block ×6, first 2 shown]
	v_add3_u32 v1, v8, v9, v7
	v_mov_b32_e32 v2, 0
	v_mov_b32_e32 v8, v2
	v_lshlrev_b64 v[1:2], 1, v[1:2]
	v_add3_u32 v4, v5, v6, v4
	v_add3_u32 v7, v10, v11, v3
	s_waitcnt lgkmcnt(0)
	v_mov_b32_e32 v3, s1
	v_add_co_u32_e32 v5, vcc, s0, v1
	v_addc_co_u32_e32 v6, vcc, v3, v2, vcc
	v_lshlrev_b64 v[1:2], 1, v[7:8]
	s_load_dwordx2 s[6:7], s[4:5], 0xb0
	s_load_dwordx8 s[36:43], s[4:5], 0x90
	v_mov_b32_e32 v3, s3
	v_add_co_u32_e32 v7, vcc, s2, v1
	v_addc_co_u32_e32 v8, vcc, v3, v2, vcc
	s_cmp_lg_u64 s[0:1], 0
	v_mul_lo_u32 v2, s23, v0
	s_cselect_b64 s[0:1], -1, 0
	s_mul_i32 s8, s9, s8
	v_cndmask_b32_e64 v1, 0, 1, s[0:1]
	s_mov_b64 s[4:5], 0
	s_mul_i32 s9, s8, s23
	s_sub_i32 s10, 0, s10
	v_cmp_ne_u32_e64 s[0:1], 1, v1
	s_waitcnt lgkmcnt(0)
	v_mov_b32_e32 v9, s37
	v_mov_b32_e32 v10, s39
	;; [unrolled: 1-line block ×5, first 2 shown]
	s_branch .LBB67_4
.LBB67_3:                               ;   in Loop: Header=BB67_4 Depth=1
	v_mul_hi_u32 v1, s18, v0
	v_add_u32_e32 v2, s9, v2
	v_add_u32_e32 v1, v0, v1
	v_lshrrev_b32_e32 v1, s19, v1
	v_mad_u64_u32 v[14:15], s[2:3], s10, v1, v[0:1]
	v_mul_lo_u32 v1, v14, s27
	v_add_co_u32_e32 v14, vcc, v1, v4
	v_addc_co_u32_e64 v15, s[2:3], 0, 0, vcc
	v_lshlrev_b64 v[14:15], 1, v[14:15]
	v_ashrrev_i32_e32 v1, 31, v0
	v_add_co_u32_e32 v16, vcc, s36, v14
	v_addc_co_u32_e32 v17, vcc, v9, v15, vcc
	v_add_co_u32_e32 v18, vcc, s38, v14
	v_addc_co_u32_e32 v19, vcc, v10, v15, vcc
	;; [unrolled: 2-line block ×5, first 2 shown]
	global_load_ushort v24, v[16:17], off
	global_load_ushort v25, v[18:19], off
	global_load_ushort v26, v[20:21], off
	global_load_ushort v27, v[22:23], off
	global_load_ushort v28, v[14:15], off
	v_lshlrev_b64 v[14:15], 1, v[0:1]
	v_add_u32_e32 v0, s8, v0
	v_cmp_le_i32_e32 vcc, s12, v0
	v_add_co_u32_e64 v14, s[2:3], v7, v14
	v_addc_co_u32_e64 v15, s[2:3], v8, v15, s[2:3]
	s_or_b64 s[4:5], vcc, s[4:5]
	s_waitcnt vmcnt(4)
	v_cvt_f32_f16_e32 v1, v24
	s_waitcnt vmcnt(3)
	v_cvt_f32_f16_e32 v16, v25
	;; [unrolled: 2-line block ×5, first 2 shown]
	v_add_f32_e32 v1, v3, v1
	v_add_f32_e32 v1, v1, v16
	;; [unrolled: 1-line block ×5, first 2 shown]
	v_cvt_f16_f32_e32 v1, v1
	global_store_short v[14:15], v1, off
	s_andn2_b64 exec, exec, s[4:5]
	s_cbranch_execz .LBB67_6
.LBB67_4:                               ; =>This Inner Loop Header: Depth=1
	s_and_b64 vcc, exec, s[0:1]
	v_mov_b32_e32 v3, 0
	s_cbranch_vccnz .LBB67_3
; %bb.5:                                ;   in Loop: Header=BB67_4 Depth=1
	v_ashrrev_i32_e32 v3, 31, v2
	v_lshlrev_b64 v[14:15], 1, v[2:3]
	v_add_co_u32_e32 v14, vcc, v5, v14
	v_addc_co_u32_e32 v15, vcc, v6, v15, vcc
	global_load_ushort v1, v[14:15], off
	s_waitcnt vmcnt(0)
	v_cvt_f32_f16_e32 v3, v1
	s_branch .LBB67_3
.LBB67_6:
	s_endpgm
	.section	.rodata,"a",@progbits
	.p2align	6, 0x0
	.amdhsa_kernel _ZL11k_bin_bcastIXadL_ZL6op_addffEE6__halfS0_S0_JPKS0_S2_S2_S2_S2_EEvPKT0_PKT1_PT2_iii15HIP_vector_typeIjLj3EESC_SC_SC_SC_iiiiiiiiiiiDpT3_
		.amdhsa_group_segment_fixed_size 0
		.amdhsa_private_segment_fixed_size 0
		.amdhsa_kernarg_size 440
		.amdhsa_user_sgpr_count 6
		.amdhsa_user_sgpr_private_segment_buffer 1
		.amdhsa_user_sgpr_dispatch_ptr 0
		.amdhsa_user_sgpr_queue_ptr 0
		.amdhsa_user_sgpr_kernarg_segment_ptr 1
		.amdhsa_user_sgpr_dispatch_id 0
		.amdhsa_user_sgpr_flat_scratch_init 0
		.amdhsa_user_sgpr_private_segment_size 0
		.amdhsa_uses_dynamic_stack 0
		.amdhsa_system_sgpr_private_segment_wavefront_offset 0
		.amdhsa_system_sgpr_workgroup_id_x 1
		.amdhsa_system_sgpr_workgroup_id_y 1
		.amdhsa_system_sgpr_workgroup_id_z 1
		.amdhsa_system_sgpr_workgroup_info 0
		.amdhsa_system_vgpr_workitem_id 2
		.amdhsa_next_free_vgpr 29
		.amdhsa_next_free_sgpr 44
		.amdhsa_reserve_vcc 1
		.amdhsa_reserve_flat_scratch 0
		.amdhsa_float_round_mode_32 0
		.amdhsa_float_round_mode_16_64 0
		.amdhsa_float_denorm_mode_32 3
		.amdhsa_float_denorm_mode_16_64 3
		.amdhsa_dx10_clamp 1
		.amdhsa_ieee_mode 1
		.amdhsa_fp16_overflow 0
		.amdhsa_exception_fp_ieee_invalid_op 0
		.amdhsa_exception_fp_denorm_src 0
		.amdhsa_exception_fp_ieee_div_zero 0
		.amdhsa_exception_fp_ieee_overflow 0
		.amdhsa_exception_fp_ieee_underflow 0
		.amdhsa_exception_fp_ieee_inexact 0
		.amdhsa_exception_int_div_zero 0
	.end_amdhsa_kernel
	.section	.text._ZL11k_bin_bcastIXadL_ZL6op_addffEE6__halfS0_S0_JPKS0_S2_S2_S2_S2_EEvPKT0_PKT1_PT2_iii15HIP_vector_typeIjLj3EESC_SC_SC_SC_iiiiiiiiiiiDpT3_,"axG",@progbits,_ZL11k_bin_bcastIXadL_ZL6op_addffEE6__halfS0_S0_JPKS0_S2_S2_S2_S2_EEvPKT0_PKT1_PT2_iii15HIP_vector_typeIjLj3EESC_SC_SC_SC_iiiiiiiiiiiDpT3_,comdat
.Lfunc_end67:
	.size	_ZL11k_bin_bcastIXadL_ZL6op_addffEE6__halfS0_S0_JPKS0_S2_S2_S2_S2_EEvPKT0_PKT1_PT2_iii15HIP_vector_typeIjLj3EESC_SC_SC_SC_iiiiiiiiiiiDpT3_, .Lfunc_end67-_ZL11k_bin_bcastIXadL_ZL6op_addffEE6__halfS0_S0_JPKS0_S2_S2_S2_S2_EEvPKT0_PKT1_PT2_iii15HIP_vector_typeIjLj3EESC_SC_SC_SC_iiiiiiiiiiiDpT3_
                                        ; -- End function
	.set _ZL11k_bin_bcastIXadL_ZL6op_addffEE6__halfS0_S0_JPKS0_S2_S2_S2_S2_EEvPKT0_PKT1_PT2_iii15HIP_vector_typeIjLj3EESC_SC_SC_SC_iiiiiiiiiiiDpT3_.num_vgpr, 29
	.set _ZL11k_bin_bcastIXadL_ZL6op_addffEE6__halfS0_S0_JPKS0_S2_S2_S2_S2_EEvPKT0_PKT1_PT2_iii15HIP_vector_typeIjLj3EESC_SC_SC_SC_iiiiiiiiiiiDpT3_.num_agpr, 0
	.set _ZL11k_bin_bcastIXadL_ZL6op_addffEE6__halfS0_S0_JPKS0_S2_S2_S2_S2_EEvPKT0_PKT1_PT2_iii15HIP_vector_typeIjLj3EESC_SC_SC_SC_iiiiiiiiiiiDpT3_.numbered_sgpr, 44
	.set _ZL11k_bin_bcastIXadL_ZL6op_addffEE6__halfS0_S0_JPKS0_S2_S2_S2_S2_EEvPKT0_PKT1_PT2_iii15HIP_vector_typeIjLj3EESC_SC_SC_SC_iiiiiiiiiiiDpT3_.num_named_barrier, 0
	.set _ZL11k_bin_bcastIXadL_ZL6op_addffEE6__halfS0_S0_JPKS0_S2_S2_S2_S2_EEvPKT0_PKT1_PT2_iii15HIP_vector_typeIjLj3EESC_SC_SC_SC_iiiiiiiiiiiDpT3_.private_seg_size, 0
	.set _ZL11k_bin_bcastIXadL_ZL6op_addffEE6__halfS0_S0_JPKS0_S2_S2_S2_S2_EEvPKT0_PKT1_PT2_iii15HIP_vector_typeIjLj3EESC_SC_SC_SC_iiiiiiiiiiiDpT3_.uses_vcc, 1
	.set _ZL11k_bin_bcastIXadL_ZL6op_addffEE6__halfS0_S0_JPKS0_S2_S2_S2_S2_EEvPKT0_PKT1_PT2_iii15HIP_vector_typeIjLj3EESC_SC_SC_SC_iiiiiiiiiiiDpT3_.uses_flat_scratch, 0
	.set _ZL11k_bin_bcastIXadL_ZL6op_addffEE6__halfS0_S0_JPKS0_S2_S2_S2_S2_EEvPKT0_PKT1_PT2_iii15HIP_vector_typeIjLj3EESC_SC_SC_SC_iiiiiiiiiiiDpT3_.has_dyn_sized_stack, 0
	.set _ZL11k_bin_bcastIXadL_ZL6op_addffEE6__halfS0_S0_JPKS0_S2_S2_S2_S2_EEvPKT0_PKT1_PT2_iii15HIP_vector_typeIjLj3EESC_SC_SC_SC_iiiiiiiiiiiDpT3_.has_recursion, 0
	.set _ZL11k_bin_bcastIXadL_ZL6op_addffEE6__halfS0_S0_JPKS0_S2_S2_S2_S2_EEvPKT0_PKT1_PT2_iii15HIP_vector_typeIjLj3EESC_SC_SC_SC_iiiiiiiiiiiDpT3_.has_indirect_call, 0
	.section	.AMDGPU.csdata,"",@progbits
; Kernel info:
; codeLenInByte = 860
; TotalNumSgprs: 48
; NumVgprs: 29
; ScratchSize: 0
; MemoryBound: 0
; FloatMode: 240
; IeeeMode: 1
; LDSByteSize: 0 bytes/workgroup (compile time only)
; SGPRBlocks: 5
; VGPRBlocks: 7
; NumSGPRsForWavesPerEU: 48
; NumVGPRsForWavesPerEU: 29
; Occupancy: 8
; WaveLimiterHint : 1
; COMPUTE_PGM_RSRC2:SCRATCH_EN: 0
; COMPUTE_PGM_RSRC2:USER_SGPR: 6
; COMPUTE_PGM_RSRC2:TRAP_HANDLER: 0
; COMPUTE_PGM_RSRC2:TGID_X_EN: 1
; COMPUTE_PGM_RSRC2:TGID_Y_EN: 1
; COMPUTE_PGM_RSRC2:TGID_Z_EN: 1
; COMPUTE_PGM_RSRC2:TIDIG_COMP_CNT: 2
	.section	.text._ZL19k_bin_bcast_unravelIXadL_ZL6op_addffEE6__halffS0_JPKfS2_S2_S2_S2_EEvPKT0_PKT1_PT2_15HIP_vector_typeIjLj3EESC_SC_jSC_SC_SC_SC_SC_SC_iiiiiiiiiiiDpT3_,"axG",@progbits,_ZL19k_bin_bcast_unravelIXadL_ZL6op_addffEE6__halffS0_JPKfS2_S2_S2_S2_EEvPKT0_PKT1_PT2_15HIP_vector_typeIjLj3EESC_SC_jSC_SC_SC_SC_SC_SC_iiiiiiiiiiiDpT3_,comdat
	.globl	_ZL19k_bin_bcast_unravelIXadL_ZL6op_addffEE6__halffS0_JPKfS2_S2_S2_S2_EEvPKT0_PKT1_PT2_15HIP_vector_typeIjLj3EESC_SC_jSC_SC_SC_SC_SC_SC_iiiiiiiiiiiDpT3_ ; -- Begin function _ZL19k_bin_bcast_unravelIXadL_ZL6op_addffEE6__halffS0_JPKfS2_S2_S2_S2_EEvPKT0_PKT1_PT2_15HIP_vector_typeIjLj3EESC_SC_jSC_SC_SC_SC_SC_SC_iiiiiiiiiiiDpT3_
	.p2align	8
	.type	_ZL19k_bin_bcast_unravelIXadL_ZL6op_addffEE6__halffS0_JPKfS2_S2_S2_S2_EEvPKT0_PKT1_PT2_15HIP_vector_typeIjLj3EESC_SC_jSC_SC_SC_SC_SC_SC_iiiiiiiiiiiDpT3_,@function
_ZL19k_bin_bcast_unravelIXadL_ZL6op_addffEE6__halffS0_JPKfS2_S2_S2_S2_EEvPKT0_PKT1_PT2_15HIP_vector_typeIjLj3EESC_SC_jSC_SC_SC_SC_SC_SC_iiiiiiiiiiiDpT3_: ; @_ZL19k_bin_bcast_unravelIXadL_ZL6op_addffEE6__halffS0_JPKfS2_S2_S2_S2_EEvPKT0_PKT1_PT2_15HIP_vector_typeIjLj3EESC_SC_jSC_SC_SC_SC_SC_SC_iiiiiiiiiiiDpT3_
; %bb.0:
	s_load_dword s0, s[4:5], 0xec
	s_load_dwordx8 s[8:15], s[4:5], 0x38
	s_waitcnt lgkmcnt(0)
	s_and_b32 s0, s0, 0xffff
	s_mul_i32 s6, s6, s0
	v_add_u32_e32 v0, s6, v0
	v_mul_hi_u32 v1, v0, s10
	s_load_dwordx4 s[0:3], s[4:5], 0x18
	s_waitcnt lgkmcnt(0)
	s_load_dword s3, s[4:5], 0x2c
	v_add_u32_e32 v1, v0, v1
	v_lshrrev_b32_e32 v1, s11, v1
	v_mul_lo_u32 v2, v1, s12
	v_sub_u32_e32 v0, v0, v2
	v_mul_hi_u32 v2, v0, s13
	v_add_u32_e32 v2, v0, v2
	v_lshrrev_b32_e32 v3, s14, v2
	v_mul_lo_u32 v2, v3, s15
	v_cmp_gt_u32_e32 vcc, s8, v3
	v_sub_u32_e32 v0, v0, v2
	v_mul_hi_u32 v2, v0, s0
	v_add_u32_e32 v2, v0, v2
	v_lshrrev_b32_e32 v4, s1, v2
	v_mul_lo_u32 v2, v4, s2
	s_waitcnt lgkmcnt(0)
	v_cmp_gt_u32_e64 s[0:1], s3, v4
	v_sub_u32_e32 v0, v0, v2
	v_cmp_gt_u32_e64 s[2:3], s2, v0
	s_and_b64 s[0:1], s[2:3], s[0:1]
	s_and_b64 s[0:1], s[0:1], vcc
	v_cmp_gt_u32_e32 vcc, s9, v1
	s_and_b64 s[0:1], vcc, s[0:1]
	s_and_saveexec_b64 s[2:3], s[0:1]
	s_cbranch_execz .LBB68_4
; %bb.1:
	s_load_dwordx2 s[6:7], s[4:5], 0x0
	s_load_dwordx4 s[0:3], s[4:5], 0xa8
	s_load_dwordx8 s[8:15], s[4:5], 0x88
	s_load_dwordx4 s[24:27], s[4:5], 0x78
	s_load_dwordx8 s[16:23], s[4:5], 0x58
	v_mov_b32_e32 v2, 0
	s_waitcnt lgkmcnt(0)
	s_cmp_eq_u64 s[6:7], 0
	v_mov_b32_e32 v5, 0
	s_cbranch_scc1 .LBB68_3
; %bb.2:
	v_mul_lo_u32 v5, v1, s14
	v_mul_lo_u32 v7, v3, s13
	v_mul_lo_u32 v8, v4, s12
	v_mov_b32_e32 v6, 0
	v_mov_b32_e32 v9, s7
	v_add3_u32 v5, v7, v5, v8
	v_lshlrev_b64 v[7:8], 1, v[5:6]
	v_mul_lo_u32 v5, v0, s11
	v_add_co_u32_e32 v7, vcc, s6, v7
	v_addc_co_u32_e32 v8, vcc, v9, v8, vcc
	v_lshlrev_b64 v[5:6], 1, v[5:6]
	v_add_co_u32_e32 v5, vcc, v7, v5
	v_addc_co_u32_e32 v6, vcc, v8, v6, vcc
	global_load_ushort v5, v[5:6], off
	s_waitcnt vmcnt(0)
	v_cvt_f32_f16_e32 v5, v5
.LBB68_3:
	v_mul_hi_u32 v6, s19, v4
	v_mul_hi_u32 v7, s22, v3
	;; [unrolled: 1-line block ×4, first 2 shown]
	v_add_u32_e32 v6, v4, v6
	v_add_u32_e32 v7, v3, v7
	;; [unrolled: 1-line block ×3, first 2 shown]
	v_lshrrev_b32_e32 v6, s20, v6
	v_lshrrev_b32_e32 v7, s23, v7
	;; [unrolled: 1-line block ×3, first 2 shown]
	v_mul_lo_u32 v6, v6, s21
	v_mul_lo_u32 v7, v7, s24
	;; [unrolled: 1-line block ×3, first 2 shown]
	v_add_u32_e32 v9, v0, v9
	v_sub_u32_e32 v6, v4, v6
	v_sub_u32_e32 v7, v3, v7
	;; [unrolled: 1-line block ×3, first 2 shown]
	v_lshrrev_b32_e32 v9, s17, v9
	v_mul_lo_u32 v8, v8, s2
	v_mul_lo_u32 v7, v7, s1
	v_mul_lo_u32 v6, v6, s0
	v_mul_lo_u32 v9, v9, s18
	v_mul_lo_u32 v13, v4, s8
	v_add3_u32 v6, v7, v8, v6
	v_sub_u32_e32 v7, v0, v9
	v_mul_lo_u32 v7, v7, s15
	s_load_dwordx2 s[0:1], s[4:5], 0xd8
	s_load_dwordx8 s[12:19], s[4:5], 0xb8
	v_ashrrev_i32_e32 v8, 31, v6
	v_ashrrev_i32_e32 v9, 31, v7
	v_add_co_u32_e32 v6, vcc, v7, v6
	v_addc_co_u32_e32 v7, vcc, v9, v8, vcc
	v_lshlrev_b64 v[6:7], 2, v[6:7]
	s_waitcnt lgkmcnt(0)
	v_mov_b32_e32 v9, s13
	v_add_co_u32_e32 v8, vcc, s12, v6
	v_addc_co_u32_e32 v9, vcc, v9, v7, vcc
	global_load_dword v10, v[8:9], off
	v_mov_b32_e32 v9, s15
	v_add_co_u32_e32 v8, vcc, s14, v6
	v_addc_co_u32_e32 v9, vcc, v9, v7, vcc
	global_load_dword v11, v[8:9], off
	;; [unrolled: 4-line block ×5, first 2 shown]
	v_mul_lo_u32 v7, v1, s10
	v_mul_lo_u32 v9, v3, s9
	s_load_dwordx2 s[0:1], s[4:5], 0x10
	v_mov_b32_e32 v1, v2
	v_lshlrev_b64 v[3:4], 1, v[0:1]
	v_add3_u32 v1, v9, v7, v13
	v_lshlrev_b64 v[0:1], 1, v[1:2]
	s_waitcnt lgkmcnt(0)
	v_mov_b32_e32 v2, s1
	v_add_co_u32_e32 v0, vcc, s0, v0
	v_addc_co_u32_e32 v1, vcc, v2, v1, vcc
	v_add_co_u32_e32 v0, vcc, v0, v3
	v_addc_co_u32_e32 v1, vcc, v1, v4, vcc
	s_waitcnt vmcnt(4)
	v_add_f32_e32 v2, v5, v10
	s_waitcnt vmcnt(3)
	v_add_f32_e32 v2, v2, v11
	;; [unrolled: 2-line block ×5, first 2 shown]
	v_cvt_f16_f32_e32 v2, v2
	global_store_short v[0:1], v2, off
.LBB68_4:
	s_endpgm
	.section	.rodata,"a",@progbits
	.p2align	6, 0x0
	.amdhsa_kernel _ZL19k_bin_bcast_unravelIXadL_ZL6op_addffEE6__halffS0_JPKfS2_S2_S2_S2_EEvPKT0_PKT1_PT2_15HIP_vector_typeIjLj3EESC_SC_jSC_SC_SC_SC_SC_SC_iiiiiiiiiiiDpT3_
		.amdhsa_group_segment_fixed_size 0
		.amdhsa_private_segment_fixed_size 0
		.amdhsa_kernarg_size 480
		.amdhsa_user_sgpr_count 6
		.amdhsa_user_sgpr_private_segment_buffer 1
		.amdhsa_user_sgpr_dispatch_ptr 0
		.amdhsa_user_sgpr_queue_ptr 0
		.amdhsa_user_sgpr_kernarg_segment_ptr 1
		.amdhsa_user_sgpr_dispatch_id 0
		.amdhsa_user_sgpr_flat_scratch_init 0
		.amdhsa_user_sgpr_private_segment_size 0
		.amdhsa_uses_dynamic_stack 0
		.amdhsa_system_sgpr_private_segment_wavefront_offset 0
		.amdhsa_system_sgpr_workgroup_id_x 1
		.amdhsa_system_sgpr_workgroup_id_y 0
		.amdhsa_system_sgpr_workgroup_id_z 0
		.amdhsa_system_sgpr_workgroup_info 0
		.amdhsa_system_vgpr_workitem_id 0
		.amdhsa_next_free_vgpr 14
		.amdhsa_next_free_sgpr 28
		.amdhsa_reserve_vcc 1
		.amdhsa_reserve_flat_scratch 0
		.amdhsa_float_round_mode_32 0
		.amdhsa_float_round_mode_16_64 0
		.amdhsa_float_denorm_mode_32 3
		.amdhsa_float_denorm_mode_16_64 3
		.amdhsa_dx10_clamp 1
		.amdhsa_ieee_mode 1
		.amdhsa_fp16_overflow 0
		.amdhsa_exception_fp_ieee_invalid_op 0
		.amdhsa_exception_fp_denorm_src 0
		.amdhsa_exception_fp_ieee_div_zero 0
		.amdhsa_exception_fp_ieee_overflow 0
		.amdhsa_exception_fp_ieee_underflow 0
		.amdhsa_exception_fp_ieee_inexact 0
		.amdhsa_exception_int_div_zero 0
	.end_amdhsa_kernel
	.section	.text._ZL19k_bin_bcast_unravelIXadL_ZL6op_addffEE6__halffS0_JPKfS2_S2_S2_S2_EEvPKT0_PKT1_PT2_15HIP_vector_typeIjLj3EESC_SC_jSC_SC_SC_SC_SC_SC_iiiiiiiiiiiDpT3_,"axG",@progbits,_ZL19k_bin_bcast_unravelIXadL_ZL6op_addffEE6__halffS0_JPKfS2_S2_S2_S2_EEvPKT0_PKT1_PT2_15HIP_vector_typeIjLj3EESC_SC_jSC_SC_SC_SC_SC_SC_iiiiiiiiiiiDpT3_,comdat
.Lfunc_end68:
	.size	_ZL19k_bin_bcast_unravelIXadL_ZL6op_addffEE6__halffS0_JPKfS2_S2_S2_S2_EEvPKT0_PKT1_PT2_15HIP_vector_typeIjLj3EESC_SC_jSC_SC_SC_SC_SC_SC_iiiiiiiiiiiDpT3_, .Lfunc_end68-_ZL19k_bin_bcast_unravelIXadL_ZL6op_addffEE6__halffS0_JPKfS2_S2_S2_S2_EEvPKT0_PKT1_PT2_15HIP_vector_typeIjLj3EESC_SC_jSC_SC_SC_SC_SC_SC_iiiiiiiiiiiDpT3_
                                        ; -- End function
	.set _ZL19k_bin_bcast_unravelIXadL_ZL6op_addffEE6__halffS0_JPKfS2_S2_S2_S2_EEvPKT0_PKT1_PT2_15HIP_vector_typeIjLj3EESC_SC_jSC_SC_SC_SC_SC_SC_iiiiiiiiiiiDpT3_.num_vgpr, 14
	.set _ZL19k_bin_bcast_unravelIXadL_ZL6op_addffEE6__halffS0_JPKfS2_S2_S2_S2_EEvPKT0_PKT1_PT2_15HIP_vector_typeIjLj3EESC_SC_jSC_SC_SC_SC_SC_SC_iiiiiiiiiiiDpT3_.num_agpr, 0
	.set _ZL19k_bin_bcast_unravelIXadL_ZL6op_addffEE6__halffS0_JPKfS2_S2_S2_S2_EEvPKT0_PKT1_PT2_15HIP_vector_typeIjLj3EESC_SC_jSC_SC_SC_SC_SC_SC_iiiiiiiiiiiDpT3_.numbered_sgpr, 28
	.set _ZL19k_bin_bcast_unravelIXadL_ZL6op_addffEE6__halffS0_JPKfS2_S2_S2_S2_EEvPKT0_PKT1_PT2_15HIP_vector_typeIjLj3EESC_SC_jSC_SC_SC_SC_SC_SC_iiiiiiiiiiiDpT3_.num_named_barrier, 0
	.set _ZL19k_bin_bcast_unravelIXadL_ZL6op_addffEE6__halffS0_JPKfS2_S2_S2_S2_EEvPKT0_PKT1_PT2_15HIP_vector_typeIjLj3EESC_SC_jSC_SC_SC_SC_SC_SC_iiiiiiiiiiiDpT3_.private_seg_size, 0
	.set _ZL19k_bin_bcast_unravelIXadL_ZL6op_addffEE6__halffS0_JPKfS2_S2_S2_S2_EEvPKT0_PKT1_PT2_15HIP_vector_typeIjLj3EESC_SC_jSC_SC_SC_SC_SC_SC_iiiiiiiiiiiDpT3_.uses_vcc, 1
	.set _ZL19k_bin_bcast_unravelIXadL_ZL6op_addffEE6__halffS0_JPKfS2_S2_S2_S2_EEvPKT0_PKT1_PT2_15HIP_vector_typeIjLj3EESC_SC_jSC_SC_SC_SC_SC_SC_iiiiiiiiiiiDpT3_.uses_flat_scratch, 0
	.set _ZL19k_bin_bcast_unravelIXadL_ZL6op_addffEE6__halffS0_JPKfS2_S2_S2_S2_EEvPKT0_PKT1_PT2_15HIP_vector_typeIjLj3EESC_SC_jSC_SC_SC_SC_SC_SC_iiiiiiiiiiiDpT3_.has_dyn_sized_stack, 0
	.set _ZL19k_bin_bcast_unravelIXadL_ZL6op_addffEE6__halffS0_JPKfS2_S2_S2_S2_EEvPKT0_PKT1_PT2_15HIP_vector_typeIjLj3EESC_SC_jSC_SC_SC_SC_SC_SC_iiiiiiiiiiiDpT3_.has_recursion, 0
	.set _ZL19k_bin_bcast_unravelIXadL_ZL6op_addffEE6__halffS0_JPKfS2_S2_S2_S2_EEvPKT0_PKT1_PT2_15HIP_vector_typeIjLj3EESC_SC_jSC_SC_SC_SC_SC_SC_iiiiiiiiiiiDpT3_.has_indirect_call, 0
	.section	.AMDGPU.csdata,"",@progbits
; Kernel info:
; codeLenInByte = 780
; TotalNumSgprs: 32
; NumVgprs: 14
; ScratchSize: 0
; MemoryBound: 0
; FloatMode: 240
; IeeeMode: 1
; LDSByteSize: 0 bytes/workgroup (compile time only)
; SGPRBlocks: 3
; VGPRBlocks: 3
; NumSGPRsForWavesPerEU: 32
; NumVGPRsForWavesPerEU: 14
; Occupancy: 10
; WaveLimiterHint : 1
; COMPUTE_PGM_RSRC2:SCRATCH_EN: 0
; COMPUTE_PGM_RSRC2:USER_SGPR: 6
; COMPUTE_PGM_RSRC2:TRAP_HANDLER: 0
; COMPUTE_PGM_RSRC2:TGID_X_EN: 1
; COMPUTE_PGM_RSRC2:TGID_Y_EN: 0
; COMPUTE_PGM_RSRC2:TGID_Z_EN: 0
; COMPUTE_PGM_RSRC2:TIDIG_COMP_CNT: 0
	.section	.text._ZL11k_bin_bcastIXadL_ZL6op_addffEE6__halffS0_JPKfS2_S2_S2_S2_EEvPKT0_PKT1_PT2_iii15HIP_vector_typeIjLj3EESC_SC_SC_SC_iiiiiiiiiiiDpT3_,"axG",@progbits,_ZL11k_bin_bcastIXadL_ZL6op_addffEE6__halffS0_JPKfS2_S2_S2_S2_EEvPKT0_PKT1_PT2_iii15HIP_vector_typeIjLj3EESC_SC_SC_SC_iiiiiiiiiiiDpT3_,comdat
	.globl	_ZL11k_bin_bcastIXadL_ZL6op_addffEE6__halffS0_JPKfS2_S2_S2_S2_EEvPKT0_PKT1_PT2_iii15HIP_vector_typeIjLj3EESC_SC_SC_SC_iiiiiiiiiiiDpT3_ ; -- Begin function _ZL11k_bin_bcastIXadL_ZL6op_addffEE6__halffS0_JPKfS2_S2_S2_S2_EEvPKT0_PKT1_PT2_iii15HIP_vector_typeIjLj3EESC_SC_SC_SC_iiiiiiiiiiiDpT3_
	.p2align	8
	.type	_ZL11k_bin_bcastIXadL_ZL6op_addffEE6__halffS0_JPKfS2_S2_S2_S2_EEvPKT0_PKT1_PT2_iii15HIP_vector_typeIjLj3EESC_SC_SC_SC_iiiiiiiiiiiDpT3_,@function
_ZL11k_bin_bcastIXadL_ZL6op_addffEE6__halffS0_JPKfS2_S2_S2_S2_EEvPKT0_PKT1_PT2_iii15HIP_vector_typeIjLj3EESC_SC_SC_SC_iiiiiiiiiiiDpT3_: ; @_ZL11k_bin_bcastIXadL_ZL6op_addffEE6__halffS0_JPKfS2_S2_S2_S2_EEvPKT0_PKT1_PT2_iii15HIP_vector_typeIjLj3EESC_SC_SC_SC_iiiiiiiiiiiDpT3_
; %bb.0:
	s_load_dwordx2 s[0:1], s[4:5], 0xc4
	s_load_dwordx8 s[12:19], s[4:5], 0x18
	s_add_u32 s2, s4, 0xb8
	s_addc_u32 s3, s5, 0
	s_waitcnt lgkmcnt(0)
	s_and_b32 s1, s1, 0xffff
	s_mul_i32 s8, s8, s1
	v_add_u32_e32 v3, s8, v2
	v_mul_hi_u32 v2, v3, s15
	s_lshr_b32 s1, s0, 16
	s_and_b32 s8, s0, 0xffff
	s_mul_i32 s6, s6, s8
	v_add_u32_e32 v2, v3, v2
	v_lshrrev_b32_e32 v2, s16, v2
	v_mul_lo_u32 v4, v2, s17
	s_mul_i32 s7, s7, s1
	v_add_u32_e32 v0, s6, v0
	v_add_u32_e32 v1, s7, v1
	v_cmp_gt_u32_e32 vcc, s12, v0
	v_cmp_gt_u32_e64 s[0:1], s13, v1
	v_sub_u32_e32 v3, v3, v4
	s_and_b64 s[0:1], vcc, s[0:1]
	v_cmp_gt_u32_e32 vcc, s14, v2
	s_and_b64 s[0:1], s[0:1], vcc
	v_cmp_gt_u32_e32 vcc, s17, v3
	s_and_b64 s[0:1], s[0:1], vcc
	s_and_saveexec_b64 s[6:7], s[0:1]
	s_cbranch_execz .LBB69_6
; %bb.1:
	v_cmp_gt_i32_e32 vcc, s12, v0
	s_and_b64 exec, exec, vcc
	s_cbranch_execz .LBB69_6
; %bb.2:
	s_load_dwordx8 s[36:43], s[4:5], 0x3c
	s_load_dwordx8 s[20:27], s[4:5], 0x60
	s_load_dwordx4 s[28:31], s[4:5], 0x80
	s_load_dword s9, s[2:3], 0x0
	s_load_dword s0, s[4:5], 0x5c
	s_waitcnt lgkmcnt(0)
	v_mul_hi_u32 v4, s36, v1
	v_mul_hi_u32 v5, s39, v2
	v_mul_hi_u32 v6, s42, v3
	v_mul_lo_u32 v7, v3, s26
	v_add_u32_e32 v4, v1, v4
	v_add_u32_e32 v5, v2, v5
	;; [unrolled: 1-line block ×3, first 2 shown]
	v_lshrrev_b32_e32 v4, s37, v4
	v_lshrrev_b32_e32 v5, s40, v5
	;; [unrolled: 1-line block ×3, first 2 shown]
	v_mul_lo_u32 v4, v4, s38
	v_mul_lo_u32 v5, v5, s41
	;; [unrolled: 1-line block ×5, first 2 shown]
	v_sub_u32_e32 v4, v1, v4
	v_sub_u32_e32 v5, v2, v5
	;; [unrolled: 1-line block ×3, first 2 shown]
	s_load_dword s10, s[4:5], 0x38
	s_load_dwordx2 s[0:1], s[4:5], 0x0
	s_load_dwordx2 s[2:3], s[4:5], 0x10
	v_mul_lo_u32 v6, v6, s30
	v_mul_lo_u32 v5, v5, s29
	;; [unrolled: 1-line block ×6, first 2 shown]
	v_add3_u32 v1, v8, v9, v7
	v_mov_b32_e32 v2, 0
	v_mov_b32_e32 v8, v2
	v_lshlrev_b64 v[1:2], 1, v[1:2]
	v_add3_u32 v4, v5, v6, v4
	v_add3_u32 v7, v10, v11, v3
	s_waitcnt lgkmcnt(0)
	v_mov_b32_e32 v3, s1
	v_add_co_u32_e32 v5, vcc, s0, v1
	v_addc_co_u32_e32 v6, vcc, v3, v2, vcc
	v_lshlrev_b64 v[1:2], 1, v[7:8]
	s_load_dwordx2 s[6:7], s[4:5], 0xb0
	s_load_dwordx8 s[36:43], s[4:5], 0x90
	v_mov_b32_e32 v3, s3
	v_add_co_u32_e32 v7, vcc, s2, v1
	v_addc_co_u32_e32 v8, vcc, v3, v2, vcc
	s_cmp_lg_u64 s[0:1], 0
	v_mul_lo_u32 v2, s23, v0
	s_cselect_b64 s[0:1], -1, 0
	s_mul_i32 s8, s9, s8
	v_cndmask_b32_e64 v1, 0, 1, s[0:1]
	s_mov_b64 s[4:5], 0
	s_mul_i32 s9, s8, s23
	s_sub_i32 s10, 0, s10
	v_cmp_ne_u32_e64 s[0:1], 1, v1
	s_waitcnt lgkmcnt(0)
	v_mov_b32_e32 v9, s37
	v_mov_b32_e32 v10, s39
	;; [unrolled: 1-line block ×5, first 2 shown]
	s_branch .LBB69_4
.LBB69_3:                               ;   in Loop: Header=BB69_4 Depth=1
	v_mul_hi_u32 v1, s18, v0
	v_add_u32_e32 v2, s9, v2
	v_add_u32_e32 v1, v0, v1
	v_lshrrev_b32_e32 v1, s19, v1
	v_mad_u64_u32 v[14:15], s[2:3], s10, v1, v[0:1]
	v_mul_lo_u32 v1, v14, s27
	v_add_co_u32_e32 v14, vcc, v1, v4
	v_addc_co_u32_e64 v15, s[2:3], 0, 0, vcc
	v_lshlrev_b64 v[14:15], 2, v[14:15]
	v_ashrrev_i32_e32 v1, 31, v0
	v_add_co_u32_e32 v16, vcc, s36, v14
	v_addc_co_u32_e32 v17, vcc, v9, v15, vcc
	v_add_co_u32_e32 v18, vcc, s38, v14
	v_addc_co_u32_e32 v19, vcc, v10, v15, vcc
	;; [unrolled: 2-line block ×5, first 2 shown]
	global_load_dword v24, v[16:17], off
	global_load_dword v25, v[18:19], off
	;; [unrolled: 1-line block ×5, first 2 shown]
	v_lshlrev_b64 v[14:15], 1, v[0:1]
	v_add_u32_e32 v0, s8, v0
	v_cmp_le_i32_e32 vcc, s12, v0
	v_add_co_u32_e64 v14, s[2:3], v7, v14
	v_addc_co_u32_e64 v15, s[2:3], v8, v15, s[2:3]
	s_or_b64 s[4:5], vcc, s[4:5]
	s_waitcnt vmcnt(4)
	v_add_f32_e32 v1, v3, v24
	s_waitcnt vmcnt(3)
	v_add_f32_e32 v1, v1, v25
	;; [unrolled: 2-line block ×5, first 2 shown]
	v_cvt_f16_f32_e32 v1, v1
	global_store_short v[14:15], v1, off
	s_andn2_b64 exec, exec, s[4:5]
	s_cbranch_execz .LBB69_6
.LBB69_4:                               ; =>This Inner Loop Header: Depth=1
	s_and_b64 vcc, exec, s[0:1]
	v_mov_b32_e32 v3, 0
	s_cbranch_vccnz .LBB69_3
; %bb.5:                                ;   in Loop: Header=BB69_4 Depth=1
	v_ashrrev_i32_e32 v3, 31, v2
	v_lshlrev_b64 v[14:15], 1, v[2:3]
	v_add_co_u32_e32 v14, vcc, v5, v14
	v_addc_co_u32_e32 v15, vcc, v6, v15, vcc
	global_load_ushort v1, v[14:15], off
	s_waitcnt vmcnt(0)
	v_cvt_f32_f16_e32 v3, v1
	s_branch .LBB69_3
.LBB69_6:
	s_endpgm
	.section	.rodata,"a",@progbits
	.p2align	6, 0x0
	.amdhsa_kernel _ZL11k_bin_bcastIXadL_ZL6op_addffEE6__halffS0_JPKfS2_S2_S2_S2_EEvPKT0_PKT1_PT2_iii15HIP_vector_typeIjLj3EESC_SC_SC_SC_iiiiiiiiiiiDpT3_
		.amdhsa_group_segment_fixed_size 0
		.amdhsa_private_segment_fixed_size 0
		.amdhsa_kernarg_size 440
		.amdhsa_user_sgpr_count 6
		.amdhsa_user_sgpr_private_segment_buffer 1
		.amdhsa_user_sgpr_dispatch_ptr 0
		.amdhsa_user_sgpr_queue_ptr 0
		.amdhsa_user_sgpr_kernarg_segment_ptr 1
		.amdhsa_user_sgpr_dispatch_id 0
		.amdhsa_user_sgpr_flat_scratch_init 0
		.amdhsa_user_sgpr_private_segment_size 0
		.amdhsa_uses_dynamic_stack 0
		.amdhsa_system_sgpr_private_segment_wavefront_offset 0
		.amdhsa_system_sgpr_workgroup_id_x 1
		.amdhsa_system_sgpr_workgroup_id_y 1
		.amdhsa_system_sgpr_workgroup_id_z 1
		.amdhsa_system_sgpr_workgroup_info 0
		.amdhsa_system_vgpr_workitem_id 2
		.amdhsa_next_free_vgpr 29
		.amdhsa_next_free_sgpr 44
		.amdhsa_reserve_vcc 1
		.amdhsa_reserve_flat_scratch 0
		.amdhsa_float_round_mode_32 0
		.amdhsa_float_round_mode_16_64 0
		.amdhsa_float_denorm_mode_32 3
		.amdhsa_float_denorm_mode_16_64 3
		.amdhsa_dx10_clamp 1
		.amdhsa_ieee_mode 1
		.amdhsa_fp16_overflow 0
		.amdhsa_exception_fp_ieee_invalid_op 0
		.amdhsa_exception_fp_denorm_src 0
		.amdhsa_exception_fp_ieee_div_zero 0
		.amdhsa_exception_fp_ieee_overflow 0
		.amdhsa_exception_fp_ieee_underflow 0
		.amdhsa_exception_fp_ieee_inexact 0
		.amdhsa_exception_int_div_zero 0
	.end_amdhsa_kernel
	.section	.text._ZL11k_bin_bcastIXadL_ZL6op_addffEE6__halffS0_JPKfS2_S2_S2_S2_EEvPKT0_PKT1_PT2_iii15HIP_vector_typeIjLj3EESC_SC_SC_SC_iiiiiiiiiiiDpT3_,"axG",@progbits,_ZL11k_bin_bcastIXadL_ZL6op_addffEE6__halffS0_JPKfS2_S2_S2_S2_EEvPKT0_PKT1_PT2_iii15HIP_vector_typeIjLj3EESC_SC_SC_SC_iiiiiiiiiiiDpT3_,comdat
.Lfunc_end69:
	.size	_ZL11k_bin_bcastIXadL_ZL6op_addffEE6__halffS0_JPKfS2_S2_S2_S2_EEvPKT0_PKT1_PT2_iii15HIP_vector_typeIjLj3EESC_SC_SC_SC_iiiiiiiiiiiDpT3_, .Lfunc_end69-_ZL11k_bin_bcastIXadL_ZL6op_addffEE6__halffS0_JPKfS2_S2_S2_S2_EEvPKT0_PKT1_PT2_iii15HIP_vector_typeIjLj3EESC_SC_SC_SC_iiiiiiiiiiiDpT3_
                                        ; -- End function
	.set _ZL11k_bin_bcastIXadL_ZL6op_addffEE6__halffS0_JPKfS2_S2_S2_S2_EEvPKT0_PKT1_PT2_iii15HIP_vector_typeIjLj3EESC_SC_SC_SC_iiiiiiiiiiiDpT3_.num_vgpr, 29
	.set _ZL11k_bin_bcastIXadL_ZL6op_addffEE6__halffS0_JPKfS2_S2_S2_S2_EEvPKT0_PKT1_PT2_iii15HIP_vector_typeIjLj3EESC_SC_SC_SC_iiiiiiiiiiiDpT3_.num_agpr, 0
	.set _ZL11k_bin_bcastIXadL_ZL6op_addffEE6__halffS0_JPKfS2_S2_S2_S2_EEvPKT0_PKT1_PT2_iii15HIP_vector_typeIjLj3EESC_SC_SC_SC_iiiiiiiiiiiDpT3_.numbered_sgpr, 44
	.set _ZL11k_bin_bcastIXadL_ZL6op_addffEE6__halffS0_JPKfS2_S2_S2_S2_EEvPKT0_PKT1_PT2_iii15HIP_vector_typeIjLj3EESC_SC_SC_SC_iiiiiiiiiiiDpT3_.num_named_barrier, 0
	.set _ZL11k_bin_bcastIXadL_ZL6op_addffEE6__halffS0_JPKfS2_S2_S2_S2_EEvPKT0_PKT1_PT2_iii15HIP_vector_typeIjLj3EESC_SC_SC_SC_iiiiiiiiiiiDpT3_.private_seg_size, 0
	.set _ZL11k_bin_bcastIXadL_ZL6op_addffEE6__halffS0_JPKfS2_S2_S2_S2_EEvPKT0_PKT1_PT2_iii15HIP_vector_typeIjLj3EESC_SC_SC_SC_iiiiiiiiiiiDpT3_.uses_vcc, 1
	.set _ZL11k_bin_bcastIXadL_ZL6op_addffEE6__halffS0_JPKfS2_S2_S2_S2_EEvPKT0_PKT1_PT2_iii15HIP_vector_typeIjLj3EESC_SC_SC_SC_iiiiiiiiiiiDpT3_.uses_flat_scratch, 0
	.set _ZL11k_bin_bcastIXadL_ZL6op_addffEE6__halffS0_JPKfS2_S2_S2_S2_EEvPKT0_PKT1_PT2_iii15HIP_vector_typeIjLj3EESC_SC_SC_SC_iiiiiiiiiiiDpT3_.has_dyn_sized_stack, 0
	.set _ZL11k_bin_bcastIXadL_ZL6op_addffEE6__halffS0_JPKfS2_S2_S2_S2_EEvPKT0_PKT1_PT2_iii15HIP_vector_typeIjLj3EESC_SC_SC_SC_iiiiiiiiiiiDpT3_.has_recursion, 0
	.set _ZL11k_bin_bcastIXadL_ZL6op_addffEE6__halffS0_JPKfS2_S2_S2_S2_EEvPKT0_PKT1_PT2_iii15HIP_vector_typeIjLj3EESC_SC_SC_SC_iiiiiiiiiiiDpT3_.has_indirect_call, 0
	.section	.AMDGPU.csdata,"",@progbits
; Kernel info:
; codeLenInByte = 840
; TotalNumSgprs: 48
; NumVgprs: 29
; ScratchSize: 0
; MemoryBound: 0
; FloatMode: 240
; IeeeMode: 1
; LDSByteSize: 0 bytes/workgroup (compile time only)
; SGPRBlocks: 5
; VGPRBlocks: 7
; NumSGPRsForWavesPerEU: 48
; NumVGPRsForWavesPerEU: 29
; Occupancy: 8
; WaveLimiterHint : 1
; COMPUTE_PGM_RSRC2:SCRATCH_EN: 0
; COMPUTE_PGM_RSRC2:USER_SGPR: 6
; COMPUTE_PGM_RSRC2:TRAP_HANDLER: 0
; COMPUTE_PGM_RSRC2:TGID_X_EN: 1
; COMPUTE_PGM_RSRC2:TGID_Y_EN: 1
; COMPUTE_PGM_RSRC2:TGID_Z_EN: 1
; COMPUTE_PGM_RSRC2:TIDIG_COMP_CNT: 2
	.section	.text._ZL19k_bin_bcast_unravelIXadL_ZL6op_addffEE6__halfffJPKfS2_S2_S2_S2_EEvPKT0_PKT1_PT2_15HIP_vector_typeIjLj3EESC_SC_jSC_SC_SC_SC_SC_SC_iiiiiiiiiiiDpT3_,"axG",@progbits,_ZL19k_bin_bcast_unravelIXadL_ZL6op_addffEE6__halfffJPKfS2_S2_S2_S2_EEvPKT0_PKT1_PT2_15HIP_vector_typeIjLj3EESC_SC_jSC_SC_SC_SC_SC_SC_iiiiiiiiiiiDpT3_,comdat
	.globl	_ZL19k_bin_bcast_unravelIXadL_ZL6op_addffEE6__halfffJPKfS2_S2_S2_S2_EEvPKT0_PKT1_PT2_15HIP_vector_typeIjLj3EESC_SC_jSC_SC_SC_SC_SC_SC_iiiiiiiiiiiDpT3_ ; -- Begin function _ZL19k_bin_bcast_unravelIXadL_ZL6op_addffEE6__halfffJPKfS2_S2_S2_S2_EEvPKT0_PKT1_PT2_15HIP_vector_typeIjLj3EESC_SC_jSC_SC_SC_SC_SC_SC_iiiiiiiiiiiDpT3_
	.p2align	8
	.type	_ZL19k_bin_bcast_unravelIXadL_ZL6op_addffEE6__halfffJPKfS2_S2_S2_S2_EEvPKT0_PKT1_PT2_15HIP_vector_typeIjLj3EESC_SC_jSC_SC_SC_SC_SC_SC_iiiiiiiiiiiDpT3_,@function
_ZL19k_bin_bcast_unravelIXadL_ZL6op_addffEE6__halfffJPKfS2_S2_S2_S2_EEvPKT0_PKT1_PT2_15HIP_vector_typeIjLj3EESC_SC_jSC_SC_SC_SC_SC_SC_iiiiiiiiiiiDpT3_: ; @_ZL19k_bin_bcast_unravelIXadL_ZL6op_addffEE6__halfffJPKfS2_S2_S2_S2_EEvPKT0_PKT1_PT2_15HIP_vector_typeIjLj3EESC_SC_jSC_SC_SC_SC_SC_SC_iiiiiiiiiiiDpT3_
; %bb.0:
	s_load_dword s0, s[4:5], 0xec
	s_load_dwordx8 s[8:15], s[4:5], 0x38
	s_waitcnt lgkmcnt(0)
	s_and_b32 s0, s0, 0xffff
	s_mul_i32 s6, s6, s0
	v_add_u32_e32 v0, s6, v0
	v_mul_hi_u32 v1, v0, s10
	s_load_dwordx4 s[0:3], s[4:5], 0x18
	s_waitcnt lgkmcnt(0)
	s_load_dword s3, s[4:5], 0x2c
	v_add_u32_e32 v1, v0, v1
	v_lshrrev_b32_e32 v1, s11, v1
	v_mul_lo_u32 v2, v1, s12
	v_sub_u32_e32 v0, v0, v2
	v_mul_hi_u32 v2, v0, s13
	v_add_u32_e32 v2, v0, v2
	v_lshrrev_b32_e32 v3, s14, v2
	v_mul_lo_u32 v2, v3, s15
	v_cmp_gt_u32_e32 vcc, s8, v3
	v_sub_u32_e32 v0, v0, v2
	v_mul_hi_u32 v2, v0, s0
	v_add_u32_e32 v2, v0, v2
	v_lshrrev_b32_e32 v4, s1, v2
	v_mul_lo_u32 v2, v4, s2
	s_waitcnt lgkmcnt(0)
	v_cmp_gt_u32_e64 s[0:1], s3, v4
	v_sub_u32_e32 v0, v0, v2
	v_cmp_gt_u32_e64 s[2:3], s2, v0
	s_and_b64 s[0:1], s[2:3], s[0:1]
	s_and_b64 s[0:1], s[0:1], vcc
	v_cmp_gt_u32_e32 vcc, s9, v1
	s_and_b64 s[0:1], vcc, s[0:1]
	s_and_saveexec_b64 s[2:3], s[0:1]
	s_cbranch_execz .LBB70_4
; %bb.1:
	s_load_dwordx2 s[6:7], s[4:5], 0x0
	s_load_dwordx4 s[0:3], s[4:5], 0xa8
	s_load_dwordx8 s[8:15], s[4:5], 0x88
	s_load_dwordx4 s[24:27], s[4:5], 0x78
	s_load_dwordx8 s[16:23], s[4:5], 0x58
	v_mov_b32_e32 v2, 0
	s_waitcnt lgkmcnt(0)
	s_cmp_eq_u64 s[6:7], 0
	v_mov_b32_e32 v5, 0
	s_cbranch_scc1 .LBB70_3
; %bb.2:
	v_mul_lo_u32 v5, v1, s14
	v_mul_lo_u32 v7, v3, s13
	;; [unrolled: 1-line block ×3, first 2 shown]
	v_mov_b32_e32 v6, 0
	v_mov_b32_e32 v9, s7
	v_add3_u32 v5, v7, v5, v8
	v_lshlrev_b64 v[7:8], 1, v[5:6]
	v_mul_lo_u32 v5, v0, s11
	v_add_co_u32_e32 v7, vcc, s6, v7
	v_addc_co_u32_e32 v8, vcc, v9, v8, vcc
	v_lshlrev_b64 v[5:6], 1, v[5:6]
	v_add_co_u32_e32 v5, vcc, v7, v5
	v_addc_co_u32_e32 v6, vcc, v8, v6, vcc
	global_load_ushort v5, v[5:6], off
	s_waitcnt vmcnt(0)
	v_cvt_f32_f16_e32 v5, v5
.LBB70_3:
	v_mul_hi_u32 v6, s19, v4
	v_mul_hi_u32 v7, s22, v3
	;; [unrolled: 1-line block ×4, first 2 shown]
	v_add_u32_e32 v6, v4, v6
	v_add_u32_e32 v7, v3, v7
	v_add_u32_e32 v8, v1, v8
	v_lshrrev_b32_e32 v6, s20, v6
	v_lshrrev_b32_e32 v7, s23, v7
	;; [unrolled: 1-line block ×3, first 2 shown]
	v_mul_lo_u32 v6, v6, s21
	v_mul_lo_u32 v7, v7, s24
	;; [unrolled: 1-line block ×3, first 2 shown]
	v_add_u32_e32 v9, v0, v9
	v_sub_u32_e32 v6, v4, v6
	v_sub_u32_e32 v7, v3, v7
	;; [unrolled: 1-line block ×3, first 2 shown]
	v_lshrrev_b32_e32 v9, s17, v9
	v_mul_lo_u32 v8, v8, s2
	v_mul_lo_u32 v7, v7, s1
	;; [unrolled: 1-line block ×5, first 2 shown]
	v_add3_u32 v6, v7, v8, v6
	v_sub_u32_e32 v7, v0, v9
	v_mul_lo_u32 v7, v7, s15
	s_load_dwordx2 s[0:1], s[4:5], 0xd8
	s_load_dwordx8 s[12:19], s[4:5], 0xb8
	v_ashrrev_i32_e32 v8, 31, v6
	v_ashrrev_i32_e32 v9, 31, v7
	v_add_co_u32_e32 v6, vcc, v7, v6
	v_addc_co_u32_e32 v7, vcc, v9, v8, vcc
	v_lshlrev_b64 v[6:7], 2, v[6:7]
	s_waitcnt lgkmcnt(0)
	v_mov_b32_e32 v9, s13
	v_add_co_u32_e32 v8, vcc, s12, v6
	v_addc_co_u32_e32 v9, vcc, v9, v7, vcc
	global_load_dword v10, v[8:9], off
	v_mov_b32_e32 v9, s15
	v_add_co_u32_e32 v8, vcc, s14, v6
	v_addc_co_u32_e32 v9, vcc, v9, v7, vcc
	global_load_dword v11, v[8:9], off
	;; [unrolled: 4-line block ×5, first 2 shown]
	v_mul_lo_u32 v7, v1, s10
	v_mul_lo_u32 v9, v3, s9
	s_load_dwordx2 s[0:1], s[4:5], 0x10
	v_mov_b32_e32 v1, v2
	v_lshlrev_b64 v[3:4], 2, v[0:1]
	v_add3_u32 v1, v9, v7, v13
	v_lshlrev_b64 v[0:1], 2, v[1:2]
	s_waitcnt lgkmcnt(0)
	v_mov_b32_e32 v2, s1
	v_add_co_u32_e32 v0, vcc, s0, v0
	v_addc_co_u32_e32 v1, vcc, v2, v1, vcc
	v_add_co_u32_e32 v0, vcc, v0, v3
	v_addc_co_u32_e32 v1, vcc, v1, v4, vcc
	s_waitcnt vmcnt(4)
	v_add_f32_e32 v2, v5, v10
	s_waitcnt vmcnt(3)
	v_add_f32_e32 v2, v2, v11
	;; [unrolled: 2-line block ×5, first 2 shown]
	global_store_dword v[0:1], v2, off
.LBB70_4:
	s_endpgm
	.section	.rodata,"a",@progbits
	.p2align	6, 0x0
	.amdhsa_kernel _ZL19k_bin_bcast_unravelIXadL_ZL6op_addffEE6__halfffJPKfS2_S2_S2_S2_EEvPKT0_PKT1_PT2_15HIP_vector_typeIjLj3EESC_SC_jSC_SC_SC_SC_SC_SC_iiiiiiiiiiiDpT3_
		.amdhsa_group_segment_fixed_size 0
		.amdhsa_private_segment_fixed_size 0
		.amdhsa_kernarg_size 480
		.amdhsa_user_sgpr_count 6
		.amdhsa_user_sgpr_private_segment_buffer 1
		.amdhsa_user_sgpr_dispatch_ptr 0
		.amdhsa_user_sgpr_queue_ptr 0
		.amdhsa_user_sgpr_kernarg_segment_ptr 1
		.amdhsa_user_sgpr_dispatch_id 0
		.amdhsa_user_sgpr_flat_scratch_init 0
		.amdhsa_user_sgpr_private_segment_size 0
		.amdhsa_uses_dynamic_stack 0
		.amdhsa_system_sgpr_private_segment_wavefront_offset 0
		.amdhsa_system_sgpr_workgroup_id_x 1
		.amdhsa_system_sgpr_workgroup_id_y 0
		.amdhsa_system_sgpr_workgroup_id_z 0
		.amdhsa_system_sgpr_workgroup_info 0
		.amdhsa_system_vgpr_workitem_id 0
		.amdhsa_next_free_vgpr 14
		.amdhsa_next_free_sgpr 28
		.amdhsa_reserve_vcc 1
		.amdhsa_reserve_flat_scratch 0
		.amdhsa_float_round_mode_32 0
		.amdhsa_float_round_mode_16_64 0
		.amdhsa_float_denorm_mode_32 3
		.amdhsa_float_denorm_mode_16_64 3
		.amdhsa_dx10_clamp 1
		.amdhsa_ieee_mode 1
		.amdhsa_fp16_overflow 0
		.amdhsa_exception_fp_ieee_invalid_op 0
		.amdhsa_exception_fp_denorm_src 0
		.amdhsa_exception_fp_ieee_div_zero 0
		.amdhsa_exception_fp_ieee_overflow 0
		.amdhsa_exception_fp_ieee_underflow 0
		.amdhsa_exception_fp_ieee_inexact 0
		.amdhsa_exception_int_div_zero 0
	.end_amdhsa_kernel
	.section	.text._ZL19k_bin_bcast_unravelIXadL_ZL6op_addffEE6__halfffJPKfS2_S2_S2_S2_EEvPKT0_PKT1_PT2_15HIP_vector_typeIjLj3EESC_SC_jSC_SC_SC_SC_SC_SC_iiiiiiiiiiiDpT3_,"axG",@progbits,_ZL19k_bin_bcast_unravelIXadL_ZL6op_addffEE6__halfffJPKfS2_S2_S2_S2_EEvPKT0_PKT1_PT2_15HIP_vector_typeIjLj3EESC_SC_jSC_SC_SC_SC_SC_SC_iiiiiiiiiiiDpT3_,comdat
.Lfunc_end70:
	.size	_ZL19k_bin_bcast_unravelIXadL_ZL6op_addffEE6__halfffJPKfS2_S2_S2_S2_EEvPKT0_PKT1_PT2_15HIP_vector_typeIjLj3EESC_SC_jSC_SC_SC_SC_SC_SC_iiiiiiiiiiiDpT3_, .Lfunc_end70-_ZL19k_bin_bcast_unravelIXadL_ZL6op_addffEE6__halfffJPKfS2_S2_S2_S2_EEvPKT0_PKT1_PT2_15HIP_vector_typeIjLj3EESC_SC_jSC_SC_SC_SC_SC_SC_iiiiiiiiiiiDpT3_
                                        ; -- End function
	.set _ZL19k_bin_bcast_unravelIXadL_ZL6op_addffEE6__halfffJPKfS2_S2_S2_S2_EEvPKT0_PKT1_PT2_15HIP_vector_typeIjLj3EESC_SC_jSC_SC_SC_SC_SC_SC_iiiiiiiiiiiDpT3_.num_vgpr, 14
	.set _ZL19k_bin_bcast_unravelIXadL_ZL6op_addffEE6__halfffJPKfS2_S2_S2_S2_EEvPKT0_PKT1_PT2_15HIP_vector_typeIjLj3EESC_SC_jSC_SC_SC_SC_SC_SC_iiiiiiiiiiiDpT3_.num_agpr, 0
	.set _ZL19k_bin_bcast_unravelIXadL_ZL6op_addffEE6__halfffJPKfS2_S2_S2_S2_EEvPKT0_PKT1_PT2_15HIP_vector_typeIjLj3EESC_SC_jSC_SC_SC_SC_SC_SC_iiiiiiiiiiiDpT3_.numbered_sgpr, 28
	.set _ZL19k_bin_bcast_unravelIXadL_ZL6op_addffEE6__halfffJPKfS2_S2_S2_S2_EEvPKT0_PKT1_PT2_15HIP_vector_typeIjLj3EESC_SC_jSC_SC_SC_SC_SC_SC_iiiiiiiiiiiDpT3_.num_named_barrier, 0
	.set _ZL19k_bin_bcast_unravelIXadL_ZL6op_addffEE6__halfffJPKfS2_S2_S2_S2_EEvPKT0_PKT1_PT2_15HIP_vector_typeIjLj3EESC_SC_jSC_SC_SC_SC_SC_SC_iiiiiiiiiiiDpT3_.private_seg_size, 0
	.set _ZL19k_bin_bcast_unravelIXadL_ZL6op_addffEE6__halfffJPKfS2_S2_S2_S2_EEvPKT0_PKT1_PT2_15HIP_vector_typeIjLj3EESC_SC_jSC_SC_SC_SC_SC_SC_iiiiiiiiiiiDpT3_.uses_vcc, 1
	.set _ZL19k_bin_bcast_unravelIXadL_ZL6op_addffEE6__halfffJPKfS2_S2_S2_S2_EEvPKT0_PKT1_PT2_15HIP_vector_typeIjLj3EESC_SC_jSC_SC_SC_SC_SC_SC_iiiiiiiiiiiDpT3_.uses_flat_scratch, 0
	.set _ZL19k_bin_bcast_unravelIXadL_ZL6op_addffEE6__halfffJPKfS2_S2_S2_S2_EEvPKT0_PKT1_PT2_15HIP_vector_typeIjLj3EESC_SC_jSC_SC_SC_SC_SC_SC_iiiiiiiiiiiDpT3_.has_dyn_sized_stack, 0
	.set _ZL19k_bin_bcast_unravelIXadL_ZL6op_addffEE6__halfffJPKfS2_S2_S2_S2_EEvPKT0_PKT1_PT2_15HIP_vector_typeIjLj3EESC_SC_jSC_SC_SC_SC_SC_SC_iiiiiiiiiiiDpT3_.has_recursion, 0
	.set _ZL19k_bin_bcast_unravelIXadL_ZL6op_addffEE6__halfffJPKfS2_S2_S2_S2_EEvPKT0_PKT1_PT2_15HIP_vector_typeIjLj3EESC_SC_jSC_SC_SC_SC_SC_SC_iiiiiiiiiiiDpT3_.has_indirect_call, 0
	.section	.AMDGPU.csdata,"",@progbits
; Kernel info:
; codeLenInByte = 776
; TotalNumSgprs: 32
; NumVgprs: 14
; ScratchSize: 0
; MemoryBound: 0
; FloatMode: 240
; IeeeMode: 1
; LDSByteSize: 0 bytes/workgroup (compile time only)
; SGPRBlocks: 3
; VGPRBlocks: 3
; NumSGPRsForWavesPerEU: 32
; NumVGPRsForWavesPerEU: 14
; Occupancy: 10
; WaveLimiterHint : 1
; COMPUTE_PGM_RSRC2:SCRATCH_EN: 0
; COMPUTE_PGM_RSRC2:USER_SGPR: 6
; COMPUTE_PGM_RSRC2:TRAP_HANDLER: 0
; COMPUTE_PGM_RSRC2:TGID_X_EN: 1
; COMPUTE_PGM_RSRC2:TGID_Y_EN: 0
; COMPUTE_PGM_RSRC2:TGID_Z_EN: 0
; COMPUTE_PGM_RSRC2:TIDIG_COMP_CNT: 0
	.section	.text._ZL11k_bin_bcastIXadL_ZL6op_addffEE6__halfffJPKfS2_S2_S2_S2_EEvPKT0_PKT1_PT2_iii15HIP_vector_typeIjLj3EESC_SC_SC_SC_iiiiiiiiiiiDpT3_,"axG",@progbits,_ZL11k_bin_bcastIXadL_ZL6op_addffEE6__halfffJPKfS2_S2_S2_S2_EEvPKT0_PKT1_PT2_iii15HIP_vector_typeIjLj3EESC_SC_SC_SC_iiiiiiiiiiiDpT3_,comdat
	.globl	_ZL11k_bin_bcastIXadL_ZL6op_addffEE6__halfffJPKfS2_S2_S2_S2_EEvPKT0_PKT1_PT2_iii15HIP_vector_typeIjLj3EESC_SC_SC_SC_iiiiiiiiiiiDpT3_ ; -- Begin function _ZL11k_bin_bcastIXadL_ZL6op_addffEE6__halfffJPKfS2_S2_S2_S2_EEvPKT0_PKT1_PT2_iii15HIP_vector_typeIjLj3EESC_SC_SC_SC_iiiiiiiiiiiDpT3_
	.p2align	8
	.type	_ZL11k_bin_bcastIXadL_ZL6op_addffEE6__halfffJPKfS2_S2_S2_S2_EEvPKT0_PKT1_PT2_iii15HIP_vector_typeIjLj3EESC_SC_SC_SC_iiiiiiiiiiiDpT3_,@function
_ZL11k_bin_bcastIXadL_ZL6op_addffEE6__halfffJPKfS2_S2_S2_S2_EEvPKT0_PKT1_PT2_iii15HIP_vector_typeIjLj3EESC_SC_SC_SC_iiiiiiiiiiiDpT3_: ; @_ZL11k_bin_bcastIXadL_ZL6op_addffEE6__halfffJPKfS2_S2_S2_S2_EEvPKT0_PKT1_PT2_iii15HIP_vector_typeIjLj3EESC_SC_SC_SC_iiiiiiiiiiiDpT3_
; %bb.0:
	s_load_dwordx2 s[0:1], s[4:5], 0xc4
	s_load_dwordx8 s[12:19], s[4:5], 0x18
	s_add_u32 s2, s4, 0xb8
	s_addc_u32 s3, s5, 0
	s_waitcnt lgkmcnt(0)
	s_and_b32 s1, s1, 0xffff
	s_mul_i32 s8, s8, s1
	v_add_u32_e32 v3, s8, v2
	v_mul_hi_u32 v2, v3, s15
	s_lshr_b32 s1, s0, 16
	s_and_b32 s8, s0, 0xffff
	s_mul_i32 s6, s6, s8
	v_add_u32_e32 v2, v3, v2
	v_lshrrev_b32_e32 v2, s16, v2
	v_mul_lo_u32 v4, v2, s17
	s_mul_i32 s7, s7, s1
	v_add_u32_e32 v0, s6, v0
	v_add_u32_e32 v1, s7, v1
	v_cmp_gt_u32_e32 vcc, s12, v0
	v_cmp_gt_u32_e64 s[0:1], s13, v1
	v_sub_u32_e32 v3, v3, v4
	s_and_b64 s[0:1], vcc, s[0:1]
	v_cmp_gt_u32_e32 vcc, s14, v2
	s_and_b64 s[0:1], s[0:1], vcc
	v_cmp_gt_u32_e32 vcc, s17, v3
	s_and_b64 s[0:1], s[0:1], vcc
	s_and_saveexec_b64 s[6:7], s[0:1]
	s_cbranch_execz .LBB71_6
; %bb.1:
	v_cmp_gt_i32_e32 vcc, s12, v0
	s_and_b64 exec, exec, vcc
	s_cbranch_execz .LBB71_6
; %bb.2:
	s_load_dwordx8 s[36:43], s[4:5], 0x3c
	s_load_dwordx8 s[20:27], s[4:5], 0x60
	s_load_dwordx4 s[28:31], s[4:5], 0x80
	s_load_dword s9, s[2:3], 0x0
	s_load_dword s0, s[4:5], 0x5c
	s_waitcnt lgkmcnt(0)
	v_mul_hi_u32 v4, s36, v1
	v_mul_hi_u32 v5, s39, v2
	;; [unrolled: 1-line block ×3, first 2 shown]
	v_mul_lo_u32 v7, v3, s26
	v_add_u32_e32 v4, v1, v4
	v_add_u32_e32 v5, v2, v5
	v_add_u32_e32 v6, v3, v6
	v_lshrrev_b32_e32 v4, s37, v4
	v_lshrrev_b32_e32 v5, s40, v5
	;; [unrolled: 1-line block ×3, first 2 shown]
	v_mul_lo_u32 v4, v4, s38
	v_mul_lo_u32 v5, v5, s41
	;; [unrolled: 1-line block ×5, first 2 shown]
	v_sub_u32_e32 v4, v1, v4
	v_sub_u32_e32 v5, v2, v5
	;; [unrolled: 1-line block ×3, first 2 shown]
	s_load_dword s10, s[4:5], 0x38
	s_load_dwordx2 s[0:1], s[4:5], 0x0
	s_load_dwordx2 s[2:3], s[4:5], 0x10
	v_mul_lo_u32 v6, v6, s30
	v_mul_lo_u32 v5, v5, s29
	;; [unrolled: 1-line block ×6, first 2 shown]
	v_add3_u32 v1, v8, v9, v7
	v_mov_b32_e32 v2, 0
	v_mov_b32_e32 v8, v2
	v_lshlrev_b64 v[1:2], 1, v[1:2]
	v_add3_u32 v4, v5, v6, v4
	v_add3_u32 v7, v10, v11, v3
	s_waitcnt lgkmcnt(0)
	v_mov_b32_e32 v3, s1
	v_add_co_u32_e32 v5, vcc, s0, v1
	v_addc_co_u32_e32 v6, vcc, v3, v2, vcc
	v_lshlrev_b64 v[1:2], 2, v[7:8]
	s_load_dwordx2 s[6:7], s[4:5], 0xb0
	s_load_dwordx8 s[36:43], s[4:5], 0x90
	v_mov_b32_e32 v3, s3
	v_add_co_u32_e32 v7, vcc, s2, v1
	v_addc_co_u32_e32 v8, vcc, v3, v2, vcc
	s_cmp_lg_u64 s[0:1], 0
	v_mul_lo_u32 v2, s23, v0
	s_cselect_b64 s[0:1], -1, 0
	s_mul_i32 s8, s9, s8
	v_cndmask_b32_e64 v1, 0, 1, s[0:1]
	s_mov_b64 s[4:5], 0
	s_mul_i32 s9, s8, s23
	s_sub_i32 s10, 0, s10
	v_cmp_ne_u32_e64 s[0:1], 1, v1
	s_waitcnt lgkmcnt(0)
	v_mov_b32_e32 v9, s37
	v_mov_b32_e32 v10, s39
	;; [unrolled: 1-line block ×5, first 2 shown]
	s_branch .LBB71_4
.LBB71_3:                               ;   in Loop: Header=BB71_4 Depth=1
	v_mul_hi_u32 v1, s18, v0
	v_add_u32_e32 v2, s9, v2
	v_add_u32_e32 v1, v0, v1
	v_lshrrev_b32_e32 v1, s19, v1
	v_mad_u64_u32 v[14:15], s[2:3], s10, v1, v[0:1]
	v_mul_lo_u32 v1, v14, s27
	v_add_co_u32_e32 v14, vcc, v1, v4
	v_addc_co_u32_e64 v15, s[2:3], 0, 0, vcc
	v_lshlrev_b64 v[14:15], 2, v[14:15]
	v_ashrrev_i32_e32 v1, 31, v0
	v_add_co_u32_e32 v16, vcc, s36, v14
	v_addc_co_u32_e32 v17, vcc, v9, v15, vcc
	v_add_co_u32_e32 v18, vcc, s38, v14
	v_addc_co_u32_e32 v19, vcc, v10, v15, vcc
	;; [unrolled: 2-line block ×5, first 2 shown]
	global_load_dword v24, v[16:17], off
	global_load_dword v25, v[18:19], off
	;; [unrolled: 1-line block ×5, first 2 shown]
	v_lshlrev_b64 v[14:15], 2, v[0:1]
	v_add_u32_e32 v0, s8, v0
	v_cmp_le_i32_e32 vcc, s12, v0
	v_add_co_u32_e64 v14, s[2:3], v7, v14
	v_addc_co_u32_e64 v15, s[2:3], v8, v15, s[2:3]
	s_or_b64 s[4:5], vcc, s[4:5]
	s_waitcnt vmcnt(4)
	v_add_f32_e32 v1, v3, v24
	s_waitcnt vmcnt(3)
	v_add_f32_e32 v1, v1, v25
	;; [unrolled: 2-line block ×5, first 2 shown]
	global_store_dword v[14:15], v1, off
	s_andn2_b64 exec, exec, s[4:5]
	s_cbranch_execz .LBB71_6
.LBB71_4:                               ; =>This Inner Loop Header: Depth=1
	s_and_b64 vcc, exec, s[0:1]
	v_mov_b32_e32 v3, 0
	s_cbranch_vccnz .LBB71_3
; %bb.5:                                ;   in Loop: Header=BB71_4 Depth=1
	v_ashrrev_i32_e32 v3, 31, v2
	v_lshlrev_b64 v[14:15], 1, v[2:3]
	v_add_co_u32_e32 v14, vcc, v5, v14
	v_addc_co_u32_e32 v15, vcc, v6, v15, vcc
	global_load_ushort v1, v[14:15], off
	s_waitcnt vmcnt(0)
	v_cvt_f32_f16_e32 v3, v1
	s_branch .LBB71_3
.LBB71_6:
	s_endpgm
	.section	.rodata,"a",@progbits
	.p2align	6, 0x0
	.amdhsa_kernel _ZL11k_bin_bcastIXadL_ZL6op_addffEE6__halfffJPKfS2_S2_S2_S2_EEvPKT0_PKT1_PT2_iii15HIP_vector_typeIjLj3EESC_SC_SC_SC_iiiiiiiiiiiDpT3_
		.amdhsa_group_segment_fixed_size 0
		.amdhsa_private_segment_fixed_size 0
		.amdhsa_kernarg_size 440
		.amdhsa_user_sgpr_count 6
		.amdhsa_user_sgpr_private_segment_buffer 1
		.amdhsa_user_sgpr_dispatch_ptr 0
		.amdhsa_user_sgpr_queue_ptr 0
		.amdhsa_user_sgpr_kernarg_segment_ptr 1
		.amdhsa_user_sgpr_dispatch_id 0
		.amdhsa_user_sgpr_flat_scratch_init 0
		.amdhsa_user_sgpr_private_segment_size 0
		.amdhsa_uses_dynamic_stack 0
		.amdhsa_system_sgpr_private_segment_wavefront_offset 0
		.amdhsa_system_sgpr_workgroup_id_x 1
		.amdhsa_system_sgpr_workgroup_id_y 1
		.amdhsa_system_sgpr_workgroup_id_z 1
		.amdhsa_system_sgpr_workgroup_info 0
		.amdhsa_system_vgpr_workitem_id 2
		.amdhsa_next_free_vgpr 29
		.amdhsa_next_free_sgpr 44
		.amdhsa_reserve_vcc 1
		.amdhsa_reserve_flat_scratch 0
		.amdhsa_float_round_mode_32 0
		.amdhsa_float_round_mode_16_64 0
		.amdhsa_float_denorm_mode_32 3
		.amdhsa_float_denorm_mode_16_64 3
		.amdhsa_dx10_clamp 1
		.amdhsa_ieee_mode 1
		.amdhsa_fp16_overflow 0
		.amdhsa_exception_fp_ieee_invalid_op 0
		.amdhsa_exception_fp_denorm_src 0
		.amdhsa_exception_fp_ieee_div_zero 0
		.amdhsa_exception_fp_ieee_overflow 0
		.amdhsa_exception_fp_ieee_underflow 0
		.amdhsa_exception_fp_ieee_inexact 0
		.amdhsa_exception_int_div_zero 0
	.end_amdhsa_kernel
	.section	.text._ZL11k_bin_bcastIXadL_ZL6op_addffEE6__halfffJPKfS2_S2_S2_S2_EEvPKT0_PKT1_PT2_iii15HIP_vector_typeIjLj3EESC_SC_SC_SC_iiiiiiiiiiiDpT3_,"axG",@progbits,_ZL11k_bin_bcastIXadL_ZL6op_addffEE6__halfffJPKfS2_S2_S2_S2_EEvPKT0_PKT1_PT2_iii15HIP_vector_typeIjLj3EESC_SC_SC_SC_iiiiiiiiiiiDpT3_,comdat
.Lfunc_end71:
	.size	_ZL11k_bin_bcastIXadL_ZL6op_addffEE6__halfffJPKfS2_S2_S2_S2_EEvPKT0_PKT1_PT2_iii15HIP_vector_typeIjLj3EESC_SC_SC_SC_iiiiiiiiiiiDpT3_, .Lfunc_end71-_ZL11k_bin_bcastIXadL_ZL6op_addffEE6__halfffJPKfS2_S2_S2_S2_EEvPKT0_PKT1_PT2_iii15HIP_vector_typeIjLj3EESC_SC_SC_SC_iiiiiiiiiiiDpT3_
                                        ; -- End function
	.set _ZL11k_bin_bcastIXadL_ZL6op_addffEE6__halfffJPKfS2_S2_S2_S2_EEvPKT0_PKT1_PT2_iii15HIP_vector_typeIjLj3EESC_SC_SC_SC_iiiiiiiiiiiDpT3_.num_vgpr, 29
	.set _ZL11k_bin_bcastIXadL_ZL6op_addffEE6__halfffJPKfS2_S2_S2_S2_EEvPKT0_PKT1_PT2_iii15HIP_vector_typeIjLj3EESC_SC_SC_SC_iiiiiiiiiiiDpT3_.num_agpr, 0
	.set _ZL11k_bin_bcastIXadL_ZL6op_addffEE6__halfffJPKfS2_S2_S2_S2_EEvPKT0_PKT1_PT2_iii15HIP_vector_typeIjLj3EESC_SC_SC_SC_iiiiiiiiiiiDpT3_.numbered_sgpr, 44
	.set _ZL11k_bin_bcastIXadL_ZL6op_addffEE6__halfffJPKfS2_S2_S2_S2_EEvPKT0_PKT1_PT2_iii15HIP_vector_typeIjLj3EESC_SC_SC_SC_iiiiiiiiiiiDpT3_.num_named_barrier, 0
	.set _ZL11k_bin_bcastIXadL_ZL6op_addffEE6__halfffJPKfS2_S2_S2_S2_EEvPKT0_PKT1_PT2_iii15HIP_vector_typeIjLj3EESC_SC_SC_SC_iiiiiiiiiiiDpT3_.private_seg_size, 0
	.set _ZL11k_bin_bcastIXadL_ZL6op_addffEE6__halfffJPKfS2_S2_S2_S2_EEvPKT0_PKT1_PT2_iii15HIP_vector_typeIjLj3EESC_SC_SC_SC_iiiiiiiiiiiDpT3_.uses_vcc, 1
	.set _ZL11k_bin_bcastIXadL_ZL6op_addffEE6__halfffJPKfS2_S2_S2_S2_EEvPKT0_PKT1_PT2_iii15HIP_vector_typeIjLj3EESC_SC_SC_SC_iiiiiiiiiiiDpT3_.uses_flat_scratch, 0
	.set _ZL11k_bin_bcastIXadL_ZL6op_addffEE6__halfffJPKfS2_S2_S2_S2_EEvPKT0_PKT1_PT2_iii15HIP_vector_typeIjLj3EESC_SC_SC_SC_iiiiiiiiiiiDpT3_.has_dyn_sized_stack, 0
	.set _ZL11k_bin_bcastIXadL_ZL6op_addffEE6__halfffJPKfS2_S2_S2_S2_EEvPKT0_PKT1_PT2_iii15HIP_vector_typeIjLj3EESC_SC_SC_SC_iiiiiiiiiiiDpT3_.has_recursion, 0
	.set _ZL11k_bin_bcastIXadL_ZL6op_addffEE6__halfffJPKfS2_S2_S2_S2_EEvPKT0_PKT1_PT2_iii15HIP_vector_typeIjLj3EESC_SC_SC_SC_iiiiiiiiiiiDpT3_.has_indirect_call, 0
	.section	.AMDGPU.csdata,"",@progbits
; Kernel info:
; codeLenInByte = 836
; TotalNumSgprs: 48
; NumVgprs: 29
; ScratchSize: 0
; MemoryBound: 0
; FloatMode: 240
; IeeeMode: 1
; LDSByteSize: 0 bytes/workgroup (compile time only)
; SGPRBlocks: 5
; VGPRBlocks: 7
; NumSGPRsForWavesPerEU: 48
; NumVGPRsForWavesPerEU: 29
; Occupancy: 8
; WaveLimiterHint : 1
; COMPUTE_PGM_RSRC2:SCRATCH_EN: 0
; COMPUTE_PGM_RSRC2:USER_SGPR: 6
; COMPUTE_PGM_RSRC2:TRAP_HANDLER: 0
; COMPUTE_PGM_RSRC2:TGID_X_EN: 1
; COMPUTE_PGM_RSRC2:TGID_Y_EN: 1
; COMPUTE_PGM_RSRC2:TGID_Z_EN: 1
; COMPUTE_PGM_RSRC2:TIDIG_COMP_CNT: 2
	.section	.text._ZL19k_bin_bcast_unravelIXadL_ZL6op_addffEEfffJPKfS1_S1_S1_S1_S1_EEvPKT0_PKT1_PT2_15HIP_vector_typeIjLj3EESB_SB_jSB_SB_SB_SB_SB_SB_iiiiiiiiiiiDpT3_,"axG",@progbits,_ZL19k_bin_bcast_unravelIXadL_ZL6op_addffEEfffJPKfS1_S1_S1_S1_S1_EEvPKT0_PKT1_PT2_15HIP_vector_typeIjLj3EESB_SB_jSB_SB_SB_SB_SB_SB_iiiiiiiiiiiDpT3_,comdat
	.globl	_ZL19k_bin_bcast_unravelIXadL_ZL6op_addffEEfffJPKfS1_S1_S1_S1_S1_EEvPKT0_PKT1_PT2_15HIP_vector_typeIjLj3EESB_SB_jSB_SB_SB_SB_SB_SB_iiiiiiiiiiiDpT3_ ; -- Begin function _ZL19k_bin_bcast_unravelIXadL_ZL6op_addffEEfffJPKfS1_S1_S1_S1_S1_EEvPKT0_PKT1_PT2_15HIP_vector_typeIjLj3EESB_SB_jSB_SB_SB_SB_SB_SB_iiiiiiiiiiiDpT3_
	.p2align	8
	.type	_ZL19k_bin_bcast_unravelIXadL_ZL6op_addffEEfffJPKfS1_S1_S1_S1_S1_EEvPKT0_PKT1_PT2_15HIP_vector_typeIjLj3EESB_SB_jSB_SB_SB_SB_SB_SB_iiiiiiiiiiiDpT3_,@function
_ZL19k_bin_bcast_unravelIXadL_ZL6op_addffEEfffJPKfS1_S1_S1_S1_S1_EEvPKT0_PKT1_PT2_15HIP_vector_typeIjLj3EESB_SB_jSB_SB_SB_SB_SB_SB_iiiiiiiiiiiDpT3_: ; @_ZL19k_bin_bcast_unravelIXadL_ZL6op_addffEEfffJPKfS1_S1_S1_S1_S1_EEvPKT0_PKT1_PT2_15HIP_vector_typeIjLj3EESB_SB_jSB_SB_SB_SB_SB_SB_iiiiiiiiiiiDpT3_
; %bb.0:
	s_load_dword s0, s[4:5], 0xf4
	s_load_dwordx8 s[8:15], s[4:5], 0x38
	s_waitcnt lgkmcnt(0)
	s_and_b32 s0, s0, 0xffff
	s_mul_i32 s6, s6, s0
	v_add_u32_e32 v0, s6, v0
	v_mul_hi_u32 v1, v0, s10
	s_load_dwordx4 s[0:3], s[4:5], 0x18
	s_waitcnt lgkmcnt(0)
	s_load_dword s3, s[4:5], 0x2c
	v_add_u32_e32 v1, v0, v1
	v_lshrrev_b32_e32 v1, s11, v1
	v_mul_lo_u32 v2, v1, s12
	v_sub_u32_e32 v0, v0, v2
	v_mul_hi_u32 v2, v0, s13
	v_add_u32_e32 v2, v0, v2
	v_lshrrev_b32_e32 v3, s14, v2
	v_mul_lo_u32 v2, v3, s15
	v_cmp_gt_u32_e32 vcc, s8, v3
	v_sub_u32_e32 v0, v0, v2
	v_mul_hi_u32 v2, v0, s0
	v_add_u32_e32 v2, v0, v2
	v_lshrrev_b32_e32 v4, s1, v2
	v_mul_lo_u32 v2, v4, s2
	s_waitcnt lgkmcnt(0)
	v_cmp_gt_u32_e64 s[0:1], s3, v4
	v_sub_u32_e32 v0, v0, v2
	v_cmp_gt_u32_e64 s[2:3], s2, v0
	s_and_b64 s[0:1], s[2:3], s[0:1]
	s_and_b64 s[0:1], s[0:1], vcc
	v_cmp_gt_u32_e32 vcc, s9, v1
	s_and_b64 s[0:1], vcc, s[0:1]
	s_and_saveexec_b64 s[2:3], s[0:1]
	s_cbranch_execz .LBB72_4
; %bb.1:
	s_load_dwordx2 s[6:7], s[4:5], 0x0
	s_load_dwordx4 s[0:3], s[4:5], 0xa8
	s_load_dwordx8 s[8:15], s[4:5], 0x88
	s_load_dwordx4 s[24:27], s[4:5], 0x78
	s_load_dwordx8 s[16:23], s[4:5], 0x58
	v_mov_b32_e32 v2, 0
	s_waitcnt lgkmcnt(0)
	s_cmp_eq_u64 s[6:7], 0
	v_mov_b32_e32 v5, 0
	s_cbranch_scc1 .LBB72_3
; %bb.2:
	v_mul_lo_u32 v5, v1, s14
	v_mul_lo_u32 v7, v3, s13
	;; [unrolled: 1-line block ×3, first 2 shown]
	v_mov_b32_e32 v6, 0
	v_mov_b32_e32 v9, s7
	v_add3_u32 v5, v7, v5, v8
	v_lshlrev_b64 v[7:8], 2, v[5:6]
	v_mul_lo_u32 v5, v0, s11
	v_add_co_u32_e32 v7, vcc, s6, v7
	v_addc_co_u32_e32 v8, vcc, v9, v8, vcc
	v_lshlrev_b64 v[5:6], 2, v[5:6]
	v_add_co_u32_e32 v5, vcc, v7, v5
	v_addc_co_u32_e32 v6, vcc, v8, v6, vcc
	global_load_dword v5, v[5:6], off
.LBB72_3:
	v_mul_hi_u32 v6, s19, v4
	v_mul_hi_u32 v7, s22, v3
	;; [unrolled: 1-line block ×4, first 2 shown]
	v_add_u32_e32 v6, v4, v6
	v_add_u32_e32 v7, v3, v7
	v_add_u32_e32 v8, v1, v8
	v_lshrrev_b32_e32 v6, s20, v6
	v_lshrrev_b32_e32 v7, s23, v7
	;; [unrolled: 1-line block ×3, first 2 shown]
	v_mul_lo_u32 v6, v6, s21
	v_mul_lo_u32 v7, v7, s24
	;; [unrolled: 1-line block ×3, first 2 shown]
	v_add_u32_e32 v9, v0, v9
	v_sub_u32_e32 v6, v4, v6
	v_sub_u32_e32 v7, v3, v7
	;; [unrolled: 1-line block ×3, first 2 shown]
	v_lshrrev_b32_e32 v9, s17, v9
	v_mul_lo_u32 v8, v8, s2
	v_mul_lo_u32 v7, v7, s1
	;; [unrolled: 1-line block ×5, first 2 shown]
	v_add3_u32 v6, v7, v8, v6
	v_sub_u32_e32 v7, v0, v9
	v_mul_lo_u32 v7, v7, s15
	s_load_dwordx4 s[0:3], s[4:5], 0xd8
	s_load_dwordx8 s[12:19], s[4:5], 0xb8
	v_ashrrev_i32_e32 v8, 31, v6
	v_ashrrev_i32_e32 v9, 31, v7
	v_add_co_u32_e32 v6, vcc, v7, v6
	v_addc_co_u32_e32 v7, vcc, v9, v8, vcc
	v_lshlrev_b64 v[6:7], 2, v[6:7]
	s_waitcnt lgkmcnt(0)
	v_mov_b32_e32 v9, s13
	v_add_co_u32_e32 v8, vcc, s12, v6
	v_addc_co_u32_e32 v9, vcc, v9, v7, vcc
	global_load_dword v10, v[8:9], off
	v_mov_b32_e32 v9, s15
	v_add_co_u32_e32 v8, vcc, s14, v6
	v_addc_co_u32_e32 v9, vcc, v9, v7, vcc
	global_load_dword v11, v[8:9], off
	;; [unrolled: 4-line block ×6, first 2 shown]
	v_mul_lo_u32 v7, v1, s10
	v_mul_lo_u32 v9, v3, s9
	s_load_dwordx2 s[0:1], s[4:5], 0x10
	v_mov_b32_e32 v1, v2
	v_lshlrev_b64 v[3:4], 2, v[0:1]
	v_add3_u32 v1, v9, v7, v14
	v_lshlrev_b64 v[0:1], 2, v[1:2]
	s_waitcnt lgkmcnt(0)
	v_mov_b32_e32 v2, s1
	v_add_co_u32_e32 v0, vcc, s0, v0
	v_addc_co_u32_e32 v1, vcc, v2, v1, vcc
	v_add_co_u32_e32 v0, vcc, v0, v3
	v_addc_co_u32_e32 v1, vcc, v1, v4, vcc
	s_waitcnt vmcnt(5)
	v_add_f32_e32 v2, v5, v10
	s_waitcnt vmcnt(4)
	v_add_f32_e32 v2, v2, v11
	;; [unrolled: 2-line block ×6, first 2 shown]
	global_store_dword v[0:1], v2, off
.LBB72_4:
	s_endpgm
	.section	.rodata,"a",@progbits
	.p2align	6, 0x0
	.amdhsa_kernel _ZL19k_bin_bcast_unravelIXadL_ZL6op_addffEEfffJPKfS1_S1_S1_S1_S1_EEvPKT0_PKT1_PT2_15HIP_vector_typeIjLj3EESB_SB_jSB_SB_SB_SB_SB_SB_iiiiiiiiiiiDpT3_
		.amdhsa_group_segment_fixed_size 0
		.amdhsa_private_segment_fixed_size 0
		.amdhsa_kernarg_size 488
		.amdhsa_user_sgpr_count 6
		.amdhsa_user_sgpr_private_segment_buffer 1
		.amdhsa_user_sgpr_dispatch_ptr 0
		.amdhsa_user_sgpr_queue_ptr 0
		.amdhsa_user_sgpr_kernarg_segment_ptr 1
		.amdhsa_user_sgpr_dispatch_id 0
		.amdhsa_user_sgpr_flat_scratch_init 0
		.amdhsa_user_sgpr_private_segment_size 0
		.amdhsa_uses_dynamic_stack 0
		.amdhsa_system_sgpr_private_segment_wavefront_offset 0
		.amdhsa_system_sgpr_workgroup_id_x 1
		.amdhsa_system_sgpr_workgroup_id_y 0
		.amdhsa_system_sgpr_workgroup_id_z 0
		.amdhsa_system_sgpr_workgroup_info 0
		.amdhsa_system_vgpr_workitem_id 0
		.amdhsa_next_free_vgpr 15
		.amdhsa_next_free_sgpr 28
		.amdhsa_reserve_vcc 1
		.amdhsa_reserve_flat_scratch 0
		.amdhsa_float_round_mode_32 0
		.amdhsa_float_round_mode_16_64 0
		.amdhsa_float_denorm_mode_32 3
		.amdhsa_float_denorm_mode_16_64 3
		.amdhsa_dx10_clamp 1
		.amdhsa_ieee_mode 1
		.amdhsa_fp16_overflow 0
		.amdhsa_exception_fp_ieee_invalid_op 0
		.amdhsa_exception_fp_denorm_src 0
		.amdhsa_exception_fp_ieee_div_zero 0
		.amdhsa_exception_fp_ieee_overflow 0
		.amdhsa_exception_fp_ieee_underflow 0
		.amdhsa_exception_fp_ieee_inexact 0
		.amdhsa_exception_int_div_zero 0
	.end_amdhsa_kernel
	.section	.text._ZL19k_bin_bcast_unravelIXadL_ZL6op_addffEEfffJPKfS1_S1_S1_S1_S1_EEvPKT0_PKT1_PT2_15HIP_vector_typeIjLj3EESB_SB_jSB_SB_SB_SB_SB_SB_iiiiiiiiiiiDpT3_,"axG",@progbits,_ZL19k_bin_bcast_unravelIXadL_ZL6op_addffEEfffJPKfS1_S1_S1_S1_S1_EEvPKT0_PKT1_PT2_15HIP_vector_typeIjLj3EESB_SB_jSB_SB_SB_SB_SB_SB_iiiiiiiiiiiDpT3_,comdat
.Lfunc_end72:
	.size	_ZL19k_bin_bcast_unravelIXadL_ZL6op_addffEEfffJPKfS1_S1_S1_S1_S1_EEvPKT0_PKT1_PT2_15HIP_vector_typeIjLj3EESB_SB_jSB_SB_SB_SB_SB_SB_iiiiiiiiiiiDpT3_, .Lfunc_end72-_ZL19k_bin_bcast_unravelIXadL_ZL6op_addffEEfffJPKfS1_S1_S1_S1_S1_EEvPKT0_PKT1_PT2_15HIP_vector_typeIjLj3EESB_SB_jSB_SB_SB_SB_SB_SB_iiiiiiiiiiiDpT3_
                                        ; -- End function
	.set _ZL19k_bin_bcast_unravelIXadL_ZL6op_addffEEfffJPKfS1_S1_S1_S1_S1_EEvPKT0_PKT1_PT2_15HIP_vector_typeIjLj3EESB_SB_jSB_SB_SB_SB_SB_SB_iiiiiiiiiiiDpT3_.num_vgpr, 15
	.set _ZL19k_bin_bcast_unravelIXadL_ZL6op_addffEEfffJPKfS1_S1_S1_S1_S1_EEvPKT0_PKT1_PT2_15HIP_vector_typeIjLj3EESB_SB_jSB_SB_SB_SB_SB_SB_iiiiiiiiiiiDpT3_.num_agpr, 0
	.set _ZL19k_bin_bcast_unravelIXadL_ZL6op_addffEEfffJPKfS1_S1_S1_S1_S1_EEvPKT0_PKT1_PT2_15HIP_vector_typeIjLj3EESB_SB_jSB_SB_SB_SB_SB_SB_iiiiiiiiiiiDpT3_.numbered_sgpr, 28
	.set _ZL19k_bin_bcast_unravelIXadL_ZL6op_addffEEfffJPKfS1_S1_S1_S1_S1_EEvPKT0_PKT1_PT2_15HIP_vector_typeIjLj3EESB_SB_jSB_SB_SB_SB_SB_SB_iiiiiiiiiiiDpT3_.num_named_barrier, 0
	.set _ZL19k_bin_bcast_unravelIXadL_ZL6op_addffEEfffJPKfS1_S1_S1_S1_S1_EEvPKT0_PKT1_PT2_15HIP_vector_typeIjLj3EESB_SB_jSB_SB_SB_SB_SB_SB_iiiiiiiiiiiDpT3_.private_seg_size, 0
	.set _ZL19k_bin_bcast_unravelIXadL_ZL6op_addffEEfffJPKfS1_S1_S1_S1_S1_EEvPKT0_PKT1_PT2_15HIP_vector_typeIjLj3EESB_SB_jSB_SB_SB_SB_SB_SB_iiiiiiiiiiiDpT3_.uses_vcc, 1
	.set _ZL19k_bin_bcast_unravelIXadL_ZL6op_addffEEfffJPKfS1_S1_S1_S1_S1_EEvPKT0_PKT1_PT2_15HIP_vector_typeIjLj3EESB_SB_jSB_SB_SB_SB_SB_SB_iiiiiiiiiiiDpT3_.uses_flat_scratch, 0
	.set _ZL19k_bin_bcast_unravelIXadL_ZL6op_addffEEfffJPKfS1_S1_S1_S1_S1_EEvPKT0_PKT1_PT2_15HIP_vector_typeIjLj3EESB_SB_jSB_SB_SB_SB_SB_SB_iiiiiiiiiiiDpT3_.has_dyn_sized_stack, 0
	.set _ZL19k_bin_bcast_unravelIXadL_ZL6op_addffEEfffJPKfS1_S1_S1_S1_S1_EEvPKT0_PKT1_PT2_15HIP_vector_typeIjLj3EESB_SB_jSB_SB_SB_SB_SB_SB_iiiiiiiiiiiDpT3_.has_recursion, 0
	.set _ZL19k_bin_bcast_unravelIXadL_ZL6op_addffEEfffJPKfS1_S1_S1_S1_S1_EEvPKT0_PKT1_PT2_15HIP_vector_typeIjLj3EESB_SB_jSB_SB_SB_SB_SB_SB_iiiiiiiiiiiDpT3_.has_indirect_call, 0
	.section	.AMDGPU.csdata,"",@progbits
; Kernel info:
; codeLenInByte = 796
; TotalNumSgprs: 32
; NumVgprs: 15
; ScratchSize: 0
; MemoryBound: 0
; FloatMode: 240
; IeeeMode: 1
; LDSByteSize: 0 bytes/workgroup (compile time only)
; SGPRBlocks: 3
; VGPRBlocks: 3
; NumSGPRsForWavesPerEU: 32
; NumVGPRsForWavesPerEU: 15
; Occupancy: 10
; WaveLimiterHint : 1
; COMPUTE_PGM_RSRC2:SCRATCH_EN: 0
; COMPUTE_PGM_RSRC2:USER_SGPR: 6
; COMPUTE_PGM_RSRC2:TRAP_HANDLER: 0
; COMPUTE_PGM_RSRC2:TGID_X_EN: 1
; COMPUTE_PGM_RSRC2:TGID_Y_EN: 0
; COMPUTE_PGM_RSRC2:TGID_Z_EN: 0
; COMPUTE_PGM_RSRC2:TIDIG_COMP_CNT: 0
	.section	.text._ZL11k_bin_bcastIXadL_ZL6op_addffEEfffJPKfS1_S1_S1_S1_S1_EEvPKT0_PKT1_PT2_iii15HIP_vector_typeIjLj3EESB_SB_SB_SB_iiiiiiiiiiiDpT3_,"axG",@progbits,_ZL11k_bin_bcastIXadL_ZL6op_addffEEfffJPKfS1_S1_S1_S1_S1_EEvPKT0_PKT1_PT2_iii15HIP_vector_typeIjLj3EESB_SB_SB_SB_iiiiiiiiiiiDpT3_,comdat
	.globl	_ZL11k_bin_bcastIXadL_ZL6op_addffEEfffJPKfS1_S1_S1_S1_S1_EEvPKT0_PKT1_PT2_iii15HIP_vector_typeIjLj3EESB_SB_SB_SB_iiiiiiiiiiiDpT3_ ; -- Begin function _ZL11k_bin_bcastIXadL_ZL6op_addffEEfffJPKfS1_S1_S1_S1_S1_EEvPKT0_PKT1_PT2_iii15HIP_vector_typeIjLj3EESB_SB_SB_SB_iiiiiiiiiiiDpT3_
	.p2align	8
	.type	_ZL11k_bin_bcastIXadL_ZL6op_addffEEfffJPKfS1_S1_S1_S1_S1_EEvPKT0_PKT1_PT2_iii15HIP_vector_typeIjLj3EESB_SB_SB_SB_iiiiiiiiiiiDpT3_,@function
_ZL11k_bin_bcastIXadL_ZL6op_addffEEfffJPKfS1_S1_S1_S1_S1_EEvPKT0_PKT1_PT2_iii15HIP_vector_typeIjLj3EESB_SB_SB_SB_iiiiiiiiiiiDpT3_: ; @_ZL11k_bin_bcastIXadL_ZL6op_addffEEfffJPKfS1_S1_S1_S1_S1_EEvPKT0_PKT1_PT2_iii15HIP_vector_typeIjLj3EESB_SB_SB_SB_iiiiiiiiiiiDpT3_
; %bb.0:
	s_load_dwordx2 s[0:1], s[4:5], 0xcc
	s_load_dwordx8 s[12:19], s[4:5], 0x18
	s_add_u32 s2, s4, 0xc0
	s_addc_u32 s3, s5, 0
	s_waitcnt lgkmcnt(0)
	s_and_b32 s1, s1, 0xffff
	s_mul_i32 s8, s8, s1
	v_add_u32_e32 v3, s8, v2
	v_mul_hi_u32 v2, v3, s15
	s_lshr_b32 s1, s0, 16
	s_and_b32 s15, s0, 0xffff
	s_mul_i32 s6, s6, s15
	v_add_u32_e32 v2, v3, v2
	v_lshrrev_b32_e32 v2, s16, v2
	v_mul_lo_u32 v4, v2, s17
	s_mul_i32 s7, s7, s1
	v_add_u32_e32 v0, s6, v0
	v_add_u32_e32 v1, s7, v1
	v_cmp_gt_u32_e32 vcc, s12, v0
	v_cmp_gt_u32_e64 s[0:1], s13, v1
	v_sub_u32_e32 v3, v3, v4
	s_and_b64 s[0:1], vcc, s[0:1]
	v_cmp_gt_u32_e32 vcc, s14, v2
	s_and_b64 s[0:1], s[0:1], vcc
	v_cmp_gt_u32_e32 vcc, s17, v3
	s_and_b64 s[0:1], s[0:1], vcc
	s_and_saveexec_b64 s[6:7], s[0:1]
	s_cbranch_execz .LBB73_6
; %bb.1:
	v_cmp_gt_i32_e32 vcc, s12, v0
	s_and_b64 exec, exec, vcc
	s_cbranch_execz .LBB73_6
; %bb.2:
	s_load_dwordx8 s[36:43], s[4:5], 0x3c
	s_load_dwordx8 s[20:27], s[4:5], 0x60
	s_load_dwordx4 s[8:11], s[4:5], 0x80
	s_load_dword s6, s[2:3], 0x0
	s_load_dword s0, s[4:5], 0x5c
	s_waitcnt lgkmcnt(0)
	v_mul_hi_u32 v4, s36, v1
	v_mul_hi_u32 v5, s39, v2
	;; [unrolled: 1-line block ×3, first 2 shown]
	v_mul_lo_u32 v7, v3, s26
	v_add_u32_e32 v4, v1, v4
	v_add_u32_e32 v5, v2, v5
	;; [unrolled: 1-line block ×3, first 2 shown]
	v_lshrrev_b32_e32 v4, s37, v4
	v_lshrrev_b32_e32 v5, s40, v5
	;; [unrolled: 1-line block ×3, first 2 shown]
	v_mul_lo_u32 v4, v4, s38
	v_mul_lo_u32 v5, v5, s41
	;; [unrolled: 1-line block ×5, first 2 shown]
	v_sub_u32_e32 v4, v1, v4
	v_sub_u32_e32 v5, v2, v5
	v_sub_u32_e32 v6, v3, v6
	s_load_dword s13, s[4:5], 0x38
	s_load_dwordx2 s[0:1], s[4:5], 0x0
	s_load_dwordx2 s[2:3], s[4:5], 0x10
	v_mul_lo_u32 v6, v6, s10
	v_mul_lo_u32 v5, v5, s9
	;; [unrolled: 1-line block ×6, first 2 shown]
	v_add3_u32 v1, v8, v9, v7
	v_mov_b32_e32 v2, 0
	v_mov_b32_e32 v8, v2
	v_lshlrev_b64 v[1:2], 2, v[1:2]
	v_add3_u32 v4, v5, v6, v4
	v_add3_u32 v7, v10, v11, v3
	s_waitcnt lgkmcnt(0)
	v_mov_b32_e32 v3, s1
	v_add_co_u32_e32 v5, vcc, s0, v1
	v_addc_co_u32_e32 v6, vcc, v3, v2, vcc
	v_lshlrev_b64 v[1:2], 2, v[7:8]
	s_load_dwordx4 s[8:11], s[4:5], 0xb0
	s_load_dwordx8 s[36:43], s[4:5], 0x90
	v_mov_b32_e32 v3, s3
	v_add_co_u32_e32 v7, vcc, s2, v1
	v_addc_co_u32_e32 v8, vcc, v3, v2, vcc
	s_cmp_lg_u64 s[0:1], 0
	v_mul_lo_u32 v2, s23, v0
	s_cselect_b64 s[0:1], -1, 0
	s_mul_i32 s6, s6, s15
	v_cndmask_b32_e64 v1, 0, 1, s[0:1]
	s_mov_b64 s[4:5], 0
	s_mul_i32 s7, s6, s23
	s_sub_i32 s13, 0, s13
	v_cmp_ne_u32_e64 s[0:1], 1, v1
	s_waitcnt lgkmcnt(0)
	v_mov_b32_e32 v9, s37
	v_mov_b32_e32 v10, s39
	;; [unrolled: 1-line block ×6, first 2 shown]
	s_branch .LBB73_4
.LBB73_3:                               ;   in Loop: Header=BB73_4 Depth=1
	v_mul_hi_u32 v1, s18, v0
	v_add_u32_e32 v2, s7, v2
	v_add_u32_e32 v1, v0, v1
	v_lshrrev_b32_e32 v1, s19, v1
	v_mad_u64_u32 v[15:16], s[2:3], s13, v1, v[0:1]
	v_mul_lo_u32 v1, v15, s27
	v_add_co_u32_e32 v15, vcc, v1, v4
	v_addc_co_u32_e64 v16, s[2:3], 0, 0, vcc
	v_lshlrev_b64 v[15:16], 2, v[15:16]
	v_ashrrev_i32_e32 v1, 31, v0
	v_add_co_u32_e32 v17, vcc, s36, v15
	v_addc_co_u32_e32 v18, vcc, v9, v16, vcc
	v_add_co_u32_e32 v19, vcc, s38, v15
	v_addc_co_u32_e32 v20, vcc, v10, v16, vcc
	;; [unrolled: 2-line block ×6, first 2 shown]
	global_load_dword v27, v[17:18], off
	global_load_dword v28, v[19:20], off
	;; [unrolled: 1-line block ×6, first 2 shown]
	v_lshlrev_b64 v[15:16], 2, v[0:1]
	v_add_u32_e32 v0, s6, v0
	v_cmp_le_i32_e32 vcc, s12, v0
	v_add_co_u32_e64 v15, s[2:3], v7, v15
	v_addc_co_u32_e64 v16, s[2:3], v8, v16, s[2:3]
	s_or_b64 s[4:5], vcc, s[4:5]
	s_waitcnt vmcnt(5)
	v_add_f32_e32 v1, v3, v27
	s_waitcnt vmcnt(4)
	v_add_f32_e32 v1, v1, v28
	s_waitcnt vmcnt(3)
	v_add_f32_e32 v1, v1, v29
	s_waitcnt vmcnt(2)
	v_add_f32_e32 v1, v1, v30
	s_waitcnt vmcnt(1)
	v_add_f32_e32 v1, v1, v31
	s_waitcnt vmcnt(0)
	v_add_f32_e32 v1, v1, v32
	global_store_dword v[15:16], v1, off
	s_andn2_b64 exec, exec, s[4:5]
	s_cbranch_execz .LBB73_6
.LBB73_4:                               ; =>This Inner Loop Header: Depth=1
	s_and_b64 vcc, exec, s[0:1]
	v_mov_b32_e32 v3, 0
	s_cbranch_vccnz .LBB73_3
; %bb.5:                                ;   in Loop: Header=BB73_4 Depth=1
	v_ashrrev_i32_e32 v3, 31, v2
	v_lshlrev_b64 v[15:16], 2, v[2:3]
	v_add_co_u32_e32 v15, vcc, v5, v15
	v_addc_co_u32_e32 v16, vcc, v6, v16, vcc
	global_load_dword v3, v[15:16], off
	s_branch .LBB73_3
.LBB73_6:
	s_endpgm
	.section	.rodata,"a",@progbits
	.p2align	6, 0x0
	.amdhsa_kernel _ZL11k_bin_bcastIXadL_ZL6op_addffEEfffJPKfS1_S1_S1_S1_S1_EEvPKT0_PKT1_PT2_iii15HIP_vector_typeIjLj3EESB_SB_SB_SB_iiiiiiiiiiiDpT3_
		.amdhsa_group_segment_fixed_size 0
		.amdhsa_private_segment_fixed_size 0
		.amdhsa_kernarg_size 448
		.amdhsa_user_sgpr_count 6
		.amdhsa_user_sgpr_private_segment_buffer 1
		.amdhsa_user_sgpr_dispatch_ptr 0
		.amdhsa_user_sgpr_queue_ptr 0
		.amdhsa_user_sgpr_kernarg_segment_ptr 1
		.amdhsa_user_sgpr_dispatch_id 0
		.amdhsa_user_sgpr_flat_scratch_init 0
		.amdhsa_user_sgpr_private_segment_size 0
		.amdhsa_uses_dynamic_stack 0
		.amdhsa_system_sgpr_private_segment_wavefront_offset 0
		.amdhsa_system_sgpr_workgroup_id_x 1
		.amdhsa_system_sgpr_workgroup_id_y 1
		.amdhsa_system_sgpr_workgroup_id_z 1
		.amdhsa_system_sgpr_workgroup_info 0
		.amdhsa_system_vgpr_workitem_id 2
		.amdhsa_next_free_vgpr 33
		.amdhsa_next_free_sgpr 44
		.amdhsa_reserve_vcc 1
		.amdhsa_reserve_flat_scratch 0
		.amdhsa_float_round_mode_32 0
		.amdhsa_float_round_mode_16_64 0
		.amdhsa_float_denorm_mode_32 3
		.amdhsa_float_denorm_mode_16_64 3
		.amdhsa_dx10_clamp 1
		.amdhsa_ieee_mode 1
		.amdhsa_fp16_overflow 0
		.amdhsa_exception_fp_ieee_invalid_op 0
		.amdhsa_exception_fp_denorm_src 0
		.amdhsa_exception_fp_ieee_div_zero 0
		.amdhsa_exception_fp_ieee_overflow 0
		.amdhsa_exception_fp_ieee_underflow 0
		.amdhsa_exception_fp_ieee_inexact 0
		.amdhsa_exception_int_div_zero 0
	.end_amdhsa_kernel
	.section	.text._ZL11k_bin_bcastIXadL_ZL6op_addffEEfffJPKfS1_S1_S1_S1_S1_EEvPKT0_PKT1_PT2_iii15HIP_vector_typeIjLj3EESB_SB_SB_SB_iiiiiiiiiiiDpT3_,"axG",@progbits,_ZL11k_bin_bcastIXadL_ZL6op_addffEEfffJPKfS1_S1_S1_S1_S1_EEvPKT0_PKT1_PT2_iii15HIP_vector_typeIjLj3EESB_SB_SB_SB_iiiiiiiiiiiDpT3_,comdat
.Lfunc_end73:
	.size	_ZL11k_bin_bcastIXadL_ZL6op_addffEEfffJPKfS1_S1_S1_S1_S1_EEvPKT0_PKT1_PT2_iii15HIP_vector_typeIjLj3EESB_SB_SB_SB_iiiiiiiiiiiDpT3_, .Lfunc_end73-_ZL11k_bin_bcastIXadL_ZL6op_addffEEfffJPKfS1_S1_S1_S1_S1_EEvPKT0_PKT1_PT2_iii15HIP_vector_typeIjLj3EESB_SB_SB_SB_iiiiiiiiiiiDpT3_
                                        ; -- End function
	.set _ZL11k_bin_bcastIXadL_ZL6op_addffEEfffJPKfS1_S1_S1_S1_S1_EEvPKT0_PKT1_PT2_iii15HIP_vector_typeIjLj3EESB_SB_SB_SB_iiiiiiiiiiiDpT3_.num_vgpr, 33
	.set _ZL11k_bin_bcastIXadL_ZL6op_addffEEfffJPKfS1_S1_S1_S1_S1_EEvPKT0_PKT1_PT2_iii15HIP_vector_typeIjLj3EESB_SB_SB_SB_iiiiiiiiiiiDpT3_.num_agpr, 0
	.set _ZL11k_bin_bcastIXadL_ZL6op_addffEEfffJPKfS1_S1_S1_S1_S1_EEvPKT0_PKT1_PT2_iii15HIP_vector_typeIjLj3EESB_SB_SB_SB_iiiiiiiiiiiDpT3_.numbered_sgpr, 44
	.set _ZL11k_bin_bcastIXadL_ZL6op_addffEEfffJPKfS1_S1_S1_S1_S1_EEvPKT0_PKT1_PT2_iii15HIP_vector_typeIjLj3EESB_SB_SB_SB_iiiiiiiiiiiDpT3_.num_named_barrier, 0
	.set _ZL11k_bin_bcastIXadL_ZL6op_addffEEfffJPKfS1_S1_S1_S1_S1_EEvPKT0_PKT1_PT2_iii15HIP_vector_typeIjLj3EESB_SB_SB_SB_iiiiiiiiiiiDpT3_.private_seg_size, 0
	.set _ZL11k_bin_bcastIXadL_ZL6op_addffEEfffJPKfS1_S1_S1_S1_S1_EEvPKT0_PKT1_PT2_iii15HIP_vector_typeIjLj3EESB_SB_SB_SB_iiiiiiiiiiiDpT3_.uses_vcc, 1
	.set _ZL11k_bin_bcastIXadL_ZL6op_addffEEfffJPKfS1_S1_S1_S1_S1_EEvPKT0_PKT1_PT2_iii15HIP_vector_typeIjLj3EESB_SB_SB_SB_iiiiiiiiiiiDpT3_.uses_flat_scratch, 0
	.set _ZL11k_bin_bcastIXadL_ZL6op_addffEEfffJPKfS1_S1_S1_S1_S1_EEvPKT0_PKT1_PT2_iii15HIP_vector_typeIjLj3EESB_SB_SB_SB_iiiiiiiiiiiDpT3_.has_dyn_sized_stack, 0
	.set _ZL11k_bin_bcastIXadL_ZL6op_addffEEfffJPKfS1_S1_S1_S1_S1_EEvPKT0_PKT1_PT2_iii15HIP_vector_typeIjLj3EESB_SB_SB_SB_iiiiiiiiiiiDpT3_.has_recursion, 0
	.set _ZL11k_bin_bcastIXadL_ZL6op_addffEEfffJPKfS1_S1_S1_S1_S1_EEvPKT0_PKT1_PT2_iii15HIP_vector_typeIjLj3EESB_SB_SB_SB_iiiiiiiiiiiDpT3_.has_indirect_call, 0
	.section	.AMDGPU.csdata,"",@progbits
; Kernel info:
; codeLenInByte = 856
; TotalNumSgprs: 48
; NumVgprs: 33
; ScratchSize: 0
; MemoryBound: 0
; FloatMode: 240
; IeeeMode: 1
; LDSByteSize: 0 bytes/workgroup (compile time only)
; SGPRBlocks: 5
; VGPRBlocks: 8
; NumSGPRsForWavesPerEU: 48
; NumVGPRsForWavesPerEU: 33
; Occupancy: 7
; WaveLimiterHint : 1
; COMPUTE_PGM_RSRC2:SCRATCH_EN: 0
; COMPUTE_PGM_RSRC2:USER_SGPR: 6
; COMPUTE_PGM_RSRC2:TRAP_HANDLER: 0
; COMPUTE_PGM_RSRC2:TGID_X_EN: 1
; COMPUTE_PGM_RSRC2:TGID_Y_EN: 1
; COMPUTE_PGM_RSRC2:TGID_Z_EN: 1
; COMPUTE_PGM_RSRC2:TIDIG_COMP_CNT: 2
	.section	.text._ZL19k_bin_bcast_unravelIXadL_ZL6op_addffEE6__halfS0_S0_JPKS0_S2_S2_S2_S2_S2_EEvPKT0_PKT1_PT2_15HIP_vector_typeIjLj3EESC_SC_jSC_SC_SC_SC_SC_SC_iiiiiiiiiiiDpT3_,"axG",@progbits,_ZL19k_bin_bcast_unravelIXadL_ZL6op_addffEE6__halfS0_S0_JPKS0_S2_S2_S2_S2_S2_EEvPKT0_PKT1_PT2_15HIP_vector_typeIjLj3EESC_SC_jSC_SC_SC_SC_SC_SC_iiiiiiiiiiiDpT3_,comdat
	.globl	_ZL19k_bin_bcast_unravelIXadL_ZL6op_addffEE6__halfS0_S0_JPKS0_S2_S2_S2_S2_S2_EEvPKT0_PKT1_PT2_15HIP_vector_typeIjLj3EESC_SC_jSC_SC_SC_SC_SC_SC_iiiiiiiiiiiDpT3_ ; -- Begin function _ZL19k_bin_bcast_unravelIXadL_ZL6op_addffEE6__halfS0_S0_JPKS0_S2_S2_S2_S2_S2_EEvPKT0_PKT1_PT2_15HIP_vector_typeIjLj3EESC_SC_jSC_SC_SC_SC_SC_SC_iiiiiiiiiiiDpT3_
	.p2align	8
	.type	_ZL19k_bin_bcast_unravelIXadL_ZL6op_addffEE6__halfS0_S0_JPKS0_S2_S2_S2_S2_S2_EEvPKT0_PKT1_PT2_15HIP_vector_typeIjLj3EESC_SC_jSC_SC_SC_SC_SC_SC_iiiiiiiiiiiDpT3_,@function
_ZL19k_bin_bcast_unravelIXadL_ZL6op_addffEE6__halfS0_S0_JPKS0_S2_S2_S2_S2_S2_EEvPKT0_PKT1_PT2_15HIP_vector_typeIjLj3EESC_SC_jSC_SC_SC_SC_SC_SC_iiiiiiiiiiiDpT3_: ; @_ZL19k_bin_bcast_unravelIXadL_ZL6op_addffEE6__halfS0_S0_JPKS0_S2_S2_S2_S2_S2_EEvPKT0_PKT1_PT2_15HIP_vector_typeIjLj3EESC_SC_jSC_SC_SC_SC_SC_SC_iiiiiiiiiiiDpT3_
; %bb.0:
	s_load_dword s0, s[4:5], 0xf4
	s_load_dwordx8 s[8:15], s[4:5], 0x38
	s_waitcnt lgkmcnt(0)
	s_and_b32 s0, s0, 0xffff
	s_mul_i32 s6, s6, s0
	v_add_u32_e32 v0, s6, v0
	v_mul_hi_u32 v1, v0, s10
	s_load_dwordx4 s[0:3], s[4:5], 0x18
	s_waitcnt lgkmcnt(0)
	s_load_dword s3, s[4:5], 0x2c
	v_add_u32_e32 v1, v0, v1
	v_lshrrev_b32_e32 v1, s11, v1
	v_mul_lo_u32 v2, v1, s12
	v_sub_u32_e32 v0, v0, v2
	v_mul_hi_u32 v2, v0, s13
	v_add_u32_e32 v2, v0, v2
	v_lshrrev_b32_e32 v3, s14, v2
	v_mul_lo_u32 v2, v3, s15
	v_cmp_gt_u32_e32 vcc, s8, v3
	v_sub_u32_e32 v0, v0, v2
	v_mul_hi_u32 v2, v0, s0
	v_add_u32_e32 v2, v0, v2
	v_lshrrev_b32_e32 v4, s1, v2
	v_mul_lo_u32 v2, v4, s2
	s_waitcnt lgkmcnt(0)
	v_cmp_gt_u32_e64 s[0:1], s3, v4
	v_sub_u32_e32 v0, v0, v2
	v_cmp_gt_u32_e64 s[2:3], s2, v0
	s_and_b64 s[0:1], s[2:3], s[0:1]
	s_and_b64 s[0:1], s[0:1], vcc
	v_cmp_gt_u32_e32 vcc, s9, v1
	s_and_b64 s[0:1], vcc, s[0:1]
	s_and_saveexec_b64 s[2:3], s[0:1]
	s_cbranch_execz .LBB74_4
; %bb.1:
	s_load_dwordx2 s[6:7], s[4:5], 0x0
	s_load_dwordx4 s[0:3], s[4:5], 0xa8
	s_load_dwordx8 s[8:15], s[4:5], 0x88
	s_load_dwordx4 s[24:27], s[4:5], 0x78
	s_load_dwordx8 s[16:23], s[4:5], 0x58
	v_mov_b32_e32 v2, 0
	s_waitcnt lgkmcnt(0)
	s_cmp_eq_u64 s[6:7], 0
	v_mov_b32_e32 v5, 0
	s_cbranch_scc1 .LBB74_3
; %bb.2:
	v_mul_lo_u32 v5, v1, s14
	v_mul_lo_u32 v7, v3, s13
	;; [unrolled: 1-line block ×3, first 2 shown]
	v_mov_b32_e32 v6, 0
	v_mov_b32_e32 v9, s7
	v_add3_u32 v5, v7, v5, v8
	v_lshlrev_b64 v[7:8], 1, v[5:6]
	v_mul_lo_u32 v5, v0, s11
	v_add_co_u32_e32 v7, vcc, s6, v7
	v_addc_co_u32_e32 v8, vcc, v9, v8, vcc
	v_lshlrev_b64 v[5:6], 1, v[5:6]
	v_add_co_u32_e32 v5, vcc, v7, v5
	v_addc_co_u32_e32 v6, vcc, v8, v6, vcc
	global_load_ushort v5, v[5:6], off
	s_waitcnt vmcnt(0)
	v_cvt_f32_f16_e32 v5, v5
.LBB74_3:
	v_mul_hi_u32 v6, s19, v4
	v_mul_hi_u32 v7, s22, v3
	;; [unrolled: 1-line block ×4, first 2 shown]
	v_add_u32_e32 v6, v4, v6
	v_add_u32_e32 v7, v3, v7
	;; [unrolled: 1-line block ×3, first 2 shown]
	v_lshrrev_b32_e32 v6, s20, v6
	v_lshrrev_b32_e32 v7, s23, v7
	;; [unrolled: 1-line block ×3, first 2 shown]
	v_mul_lo_u32 v6, v6, s21
	v_mul_lo_u32 v7, v7, s24
	;; [unrolled: 1-line block ×3, first 2 shown]
	v_add_u32_e32 v9, v0, v9
	v_sub_u32_e32 v6, v4, v6
	v_sub_u32_e32 v7, v3, v7
	;; [unrolled: 1-line block ×3, first 2 shown]
	v_lshrrev_b32_e32 v9, s17, v9
	v_mul_lo_u32 v8, v8, s2
	v_mul_lo_u32 v7, v7, s1
	;; [unrolled: 1-line block ×5, first 2 shown]
	v_add3_u32 v6, v7, v8, v6
	v_sub_u32_e32 v7, v0, v9
	v_mul_lo_u32 v7, v7, s15
	s_load_dwordx4 s[0:3], s[4:5], 0xd8
	s_load_dwordx8 s[12:19], s[4:5], 0xb8
	v_ashrrev_i32_e32 v8, 31, v6
	v_ashrrev_i32_e32 v9, 31, v7
	v_add_co_u32_e32 v6, vcc, v7, v6
	v_addc_co_u32_e32 v7, vcc, v9, v8, vcc
	v_lshlrev_b64 v[6:7], 1, v[6:7]
	s_waitcnt lgkmcnt(0)
	v_mov_b32_e32 v9, s13
	v_add_co_u32_e32 v8, vcc, s12, v6
	v_addc_co_u32_e32 v9, vcc, v9, v7, vcc
	global_load_ushort v10, v[8:9], off
	v_mov_b32_e32 v9, s15
	v_add_co_u32_e32 v8, vcc, s14, v6
	v_addc_co_u32_e32 v9, vcc, v9, v7, vcc
	global_load_ushort v11, v[8:9], off
	;; [unrolled: 4-line block ×6, first 2 shown]
	v_mul_lo_u32 v7, v1, s10
	v_mul_lo_u32 v9, v3, s9
	s_load_dwordx2 s[0:1], s[4:5], 0x10
	v_mov_b32_e32 v1, v2
	v_lshlrev_b64 v[3:4], 1, v[0:1]
	v_add3_u32 v1, v9, v7, v14
	v_lshlrev_b64 v[0:1], 1, v[1:2]
	s_waitcnt lgkmcnt(0)
	v_mov_b32_e32 v2, s1
	v_add_co_u32_e32 v0, vcc, s0, v0
	v_addc_co_u32_e32 v1, vcc, v2, v1, vcc
	v_add_co_u32_e32 v0, vcc, v0, v3
	v_addc_co_u32_e32 v1, vcc, v1, v4, vcc
	s_waitcnt vmcnt(5)
	v_cvt_f32_f16_e32 v2, v10
	v_add_f32_e32 v2, v5, v2
	s_waitcnt vmcnt(4)
	v_cvt_f32_f16_e32 v7, v11
	v_add_f32_e32 v2, v2, v7
	;; [unrolled: 3-line block ×6, first 2 shown]
	v_cvt_f16_f32_e32 v2, v2
	global_store_short v[0:1], v2, off
.LBB74_4:
	s_endpgm
	.section	.rodata,"a",@progbits
	.p2align	6, 0x0
	.amdhsa_kernel _ZL19k_bin_bcast_unravelIXadL_ZL6op_addffEE6__halfS0_S0_JPKS0_S2_S2_S2_S2_S2_EEvPKT0_PKT1_PT2_15HIP_vector_typeIjLj3EESC_SC_jSC_SC_SC_SC_SC_SC_iiiiiiiiiiiDpT3_
		.amdhsa_group_segment_fixed_size 0
		.amdhsa_private_segment_fixed_size 0
		.amdhsa_kernarg_size 488
		.amdhsa_user_sgpr_count 6
		.amdhsa_user_sgpr_private_segment_buffer 1
		.amdhsa_user_sgpr_dispatch_ptr 0
		.amdhsa_user_sgpr_queue_ptr 0
		.amdhsa_user_sgpr_kernarg_segment_ptr 1
		.amdhsa_user_sgpr_dispatch_id 0
		.amdhsa_user_sgpr_flat_scratch_init 0
		.amdhsa_user_sgpr_private_segment_size 0
		.amdhsa_uses_dynamic_stack 0
		.amdhsa_system_sgpr_private_segment_wavefront_offset 0
		.amdhsa_system_sgpr_workgroup_id_x 1
		.amdhsa_system_sgpr_workgroup_id_y 0
		.amdhsa_system_sgpr_workgroup_id_z 0
		.amdhsa_system_sgpr_workgroup_info 0
		.amdhsa_system_vgpr_workitem_id 0
		.amdhsa_next_free_vgpr 15
		.amdhsa_next_free_sgpr 28
		.amdhsa_reserve_vcc 1
		.amdhsa_reserve_flat_scratch 0
		.amdhsa_float_round_mode_32 0
		.amdhsa_float_round_mode_16_64 0
		.amdhsa_float_denorm_mode_32 3
		.amdhsa_float_denorm_mode_16_64 3
		.amdhsa_dx10_clamp 1
		.amdhsa_ieee_mode 1
		.amdhsa_fp16_overflow 0
		.amdhsa_exception_fp_ieee_invalid_op 0
		.amdhsa_exception_fp_denorm_src 0
		.amdhsa_exception_fp_ieee_div_zero 0
		.amdhsa_exception_fp_ieee_overflow 0
		.amdhsa_exception_fp_ieee_underflow 0
		.amdhsa_exception_fp_ieee_inexact 0
		.amdhsa_exception_int_div_zero 0
	.end_amdhsa_kernel
	.section	.text._ZL19k_bin_bcast_unravelIXadL_ZL6op_addffEE6__halfS0_S0_JPKS0_S2_S2_S2_S2_S2_EEvPKT0_PKT1_PT2_15HIP_vector_typeIjLj3EESC_SC_jSC_SC_SC_SC_SC_SC_iiiiiiiiiiiDpT3_,"axG",@progbits,_ZL19k_bin_bcast_unravelIXadL_ZL6op_addffEE6__halfS0_S0_JPKS0_S2_S2_S2_S2_S2_EEvPKT0_PKT1_PT2_15HIP_vector_typeIjLj3EESC_SC_jSC_SC_SC_SC_SC_SC_iiiiiiiiiiiDpT3_,comdat
.Lfunc_end74:
	.size	_ZL19k_bin_bcast_unravelIXadL_ZL6op_addffEE6__halfS0_S0_JPKS0_S2_S2_S2_S2_S2_EEvPKT0_PKT1_PT2_15HIP_vector_typeIjLj3EESC_SC_jSC_SC_SC_SC_SC_SC_iiiiiiiiiiiDpT3_, .Lfunc_end74-_ZL19k_bin_bcast_unravelIXadL_ZL6op_addffEE6__halfS0_S0_JPKS0_S2_S2_S2_S2_S2_EEvPKT0_PKT1_PT2_15HIP_vector_typeIjLj3EESC_SC_jSC_SC_SC_SC_SC_SC_iiiiiiiiiiiDpT3_
                                        ; -- End function
	.set _ZL19k_bin_bcast_unravelIXadL_ZL6op_addffEE6__halfS0_S0_JPKS0_S2_S2_S2_S2_S2_EEvPKT0_PKT1_PT2_15HIP_vector_typeIjLj3EESC_SC_jSC_SC_SC_SC_SC_SC_iiiiiiiiiiiDpT3_.num_vgpr, 15
	.set _ZL19k_bin_bcast_unravelIXadL_ZL6op_addffEE6__halfS0_S0_JPKS0_S2_S2_S2_S2_S2_EEvPKT0_PKT1_PT2_15HIP_vector_typeIjLj3EESC_SC_jSC_SC_SC_SC_SC_SC_iiiiiiiiiiiDpT3_.num_agpr, 0
	.set _ZL19k_bin_bcast_unravelIXadL_ZL6op_addffEE6__halfS0_S0_JPKS0_S2_S2_S2_S2_S2_EEvPKT0_PKT1_PT2_15HIP_vector_typeIjLj3EESC_SC_jSC_SC_SC_SC_SC_SC_iiiiiiiiiiiDpT3_.numbered_sgpr, 28
	.set _ZL19k_bin_bcast_unravelIXadL_ZL6op_addffEE6__halfS0_S0_JPKS0_S2_S2_S2_S2_S2_EEvPKT0_PKT1_PT2_15HIP_vector_typeIjLj3EESC_SC_jSC_SC_SC_SC_SC_SC_iiiiiiiiiiiDpT3_.num_named_barrier, 0
	.set _ZL19k_bin_bcast_unravelIXadL_ZL6op_addffEE6__halfS0_S0_JPKS0_S2_S2_S2_S2_S2_EEvPKT0_PKT1_PT2_15HIP_vector_typeIjLj3EESC_SC_jSC_SC_SC_SC_SC_SC_iiiiiiiiiiiDpT3_.private_seg_size, 0
	.set _ZL19k_bin_bcast_unravelIXadL_ZL6op_addffEE6__halfS0_S0_JPKS0_S2_S2_S2_S2_S2_EEvPKT0_PKT1_PT2_15HIP_vector_typeIjLj3EESC_SC_jSC_SC_SC_SC_SC_SC_iiiiiiiiiiiDpT3_.uses_vcc, 1
	.set _ZL19k_bin_bcast_unravelIXadL_ZL6op_addffEE6__halfS0_S0_JPKS0_S2_S2_S2_S2_S2_EEvPKT0_PKT1_PT2_15HIP_vector_typeIjLj3EESC_SC_jSC_SC_SC_SC_SC_SC_iiiiiiiiiiiDpT3_.uses_flat_scratch, 0
	.set _ZL19k_bin_bcast_unravelIXadL_ZL6op_addffEE6__halfS0_S0_JPKS0_S2_S2_S2_S2_S2_EEvPKT0_PKT1_PT2_15HIP_vector_typeIjLj3EESC_SC_jSC_SC_SC_SC_SC_SC_iiiiiiiiiiiDpT3_.has_dyn_sized_stack, 0
	.set _ZL19k_bin_bcast_unravelIXadL_ZL6op_addffEE6__halfS0_S0_JPKS0_S2_S2_S2_S2_S2_EEvPKT0_PKT1_PT2_15HIP_vector_typeIjLj3EESC_SC_jSC_SC_SC_SC_SC_SC_iiiiiiiiiiiDpT3_.has_recursion, 0
	.set _ZL19k_bin_bcast_unravelIXadL_ZL6op_addffEE6__halfS0_S0_JPKS0_S2_S2_S2_S2_S2_EEvPKT0_PKT1_PT2_15HIP_vector_typeIjLj3EESC_SC_jSC_SC_SC_SC_SC_SC_iiiiiiiiiiiDpT3_.has_indirect_call, 0
	.section	.AMDGPU.csdata,"",@progbits
; Kernel info:
; codeLenInByte = 832
; TotalNumSgprs: 32
; NumVgprs: 15
; ScratchSize: 0
; MemoryBound: 0
; FloatMode: 240
; IeeeMode: 1
; LDSByteSize: 0 bytes/workgroup (compile time only)
; SGPRBlocks: 3
; VGPRBlocks: 3
; NumSGPRsForWavesPerEU: 32
; NumVGPRsForWavesPerEU: 15
; Occupancy: 10
; WaveLimiterHint : 1
; COMPUTE_PGM_RSRC2:SCRATCH_EN: 0
; COMPUTE_PGM_RSRC2:USER_SGPR: 6
; COMPUTE_PGM_RSRC2:TRAP_HANDLER: 0
; COMPUTE_PGM_RSRC2:TGID_X_EN: 1
; COMPUTE_PGM_RSRC2:TGID_Y_EN: 0
; COMPUTE_PGM_RSRC2:TGID_Z_EN: 0
; COMPUTE_PGM_RSRC2:TIDIG_COMP_CNT: 0
	.section	.text._ZL11k_bin_bcastIXadL_ZL6op_addffEE6__halfS0_S0_JPKS0_S2_S2_S2_S2_S2_EEvPKT0_PKT1_PT2_iii15HIP_vector_typeIjLj3EESC_SC_SC_SC_iiiiiiiiiiiDpT3_,"axG",@progbits,_ZL11k_bin_bcastIXadL_ZL6op_addffEE6__halfS0_S0_JPKS0_S2_S2_S2_S2_S2_EEvPKT0_PKT1_PT2_iii15HIP_vector_typeIjLj3EESC_SC_SC_SC_iiiiiiiiiiiDpT3_,comdat
	.globl	_ZL11k_bin_bcastIXadL_ZL6op_addffEE6__halfS0_S0_JPKS0_S2_S2_S2_S2_S2_EEvPKT0_PKT1_PT2_iii15HIP_vector_typeIjLj3EESC_SC_SC_SC_iiiiiiiiiiiDpT3_ ; -- Begin function _ZL11k_bin_bcastIXadL_ZL6op_addffEE6__halfS0_S0_JPKS0_S2_S2_S2_S2_S2_EEvPKT0_PKT1_PT2_iii15HIP_vector_typeIjLj3EESC_SC_SC_SC_iiiiiiiiiiiDpT3_
	.p2align	8
	.type	_ZL11k_bin_bcastIXadL_ZL6op_addffEE6__halfS0_S0_JPKS0_S2_S2_S2_S2_S2_EEvPKT0_PKT1_PT2_iii15HIP_vector_typeIjLj3EESC_SC_SC_SC_iiiiiiiiiiiDpT3_,@function
_ZL11k_bin_bcastIXadL_ZL6op_addffEE6__halfS0_S0_JPKS0_S2_S2_S2_S2_S2_EEvPKT0_PKT1_PT2_iii15HIP_vector_typeIjLj3EESC_SC_SC_SC_iiiiiiiiiiiDpT3_: ; @_ZL11k_bin_bcastIXadL_ZL6op_addffEE6__halfS0_S0_JPKS0_S2_S2_S2_S2_S2_EEvPKT0_PKT1_PT2_iii15HIP_vector_typeIjLj3EESC_SC_SC_SC_iiiiiiiiiiiDpT3_
; %bb.0:
	s_load_dwordx2 s[0:1], s[4:5], 0xcc
	s_load_dwordx8 s[12:19], s[4:5], 0x18
	s_add_u32 s2, s4, 0xc0
	s_addc_u32 s3, s5, 0
	s_waitcnt lgkmcnt(0)
	s_and_b32 s1, s1, 0xffff
	s_mul_i32 s8, s8, s1
	v_add_u32_e32 v3, s8, v2
	v_mul_hi_u32 v2, v3, s15
	s_lshr_b32 s1, s0, 16
	s_and_b32 s15, s0, 0xffff
	s_mul_i32 s6, s6, s15
	v_add_u32_e32 v2, v3, v2
	v_lshrrev_b32_e32 v2, s16, v2
	v_mul_lo_u32 v4, v2, s17
	s_mul_i32 s7, s7, s1
	v_add_u32_e32 v0, s6, v0
	v_add_u32_e32 v1, s7, v1
	v_cmp_gt_u32_e32 vcc, s12, v0
	v_cmp_gt_u32_e64 s[0:1], s13, v1
	v_sub_u32_e32 v3, v3, v4
	s_and_b64 s[0:1], vcc, s[0:1]
	v_cmp_gt_u32_e32 vcc, s14, v2
	s_and_b64 s[0:1], s[0:1], vcc
	v_cmp_gt_u32_e32 vcc, s17, v3
	s_and_b64 s[0:1], s[0:1], vcc
	s_and_saveexec_b64 s[6:7], s[0:1]
	s_cbranch_execz .LBB75_6
; %bb.1:
	v_cmp_gt_i32_e32 vcc, s12, v0
	s_and_b64 exec, exec, vcc
	s_cbranch_execz .LBB75_6
; %bb.2:
	s_load_dwordx8 s[36:43], s[4:5], 0x3c
	s_load_dwordx8 s[20:27], s[4:5], 0x60
	s_load_dwordx4 s[8:11], s[4:5], 0x80
	s_load_dword s6, s[2:3], 0x0
	s_load_dword s0, s[4:5], 0x5c
	s_waitcnt lgkmcnt(0)
	v_mul_hi_u32 v4, s36, v1
	v_mul_hi_u32 v5, s39, v2
	;; [unrolled: 1-line block ×3, first 2 shown]
	v_mul_lo_u32 v7, v3, s26
	v_add_u32_e32 v4, v1, v4
	v_add_u32_e32 v5, v2, v5
	;; [unrolled: 1-line block ×3, first 2 shown]
	v_lshrrev_b32_e32 v4, s37, v4
	v_lshrrev_b32_e32 v5, s40, v5
	;; [unrolled: 1-line block ×3, first 2 shown]
	v_mul_lo_u32 v4, v4, s38
	v_mul_lo_u32 v5, v5, s41
	;; [unrolled: 1-line block ×5, first 2 shown]
	v_sub_u32_e32 v4, v1, v4
	v_sub_u32_e32 v5, v2, v5
	;; [unrolled: 1-line block ×3, first 2 shown]
	s_load_dword s13, s[4:5], 0x38
	s_load_dwordx2 s[0:1], s[4:5], 0x0
	s_load_dwordx2 s[2:3], s[4:5], 0x10
	v_mul_lo_u32 v6, v6, s10
	v_mul_lo_u32 v5, v5, s9
	;; [unrolled: 1-line block ×6, first 2 shown]
	v_add3_u32 v1, v8, v9, v7
	v_mov_b32_e32 v2, 0
	v_mov_b32_e32 v8, v2
	v_lshlrev_b64 v[1:2], 1, v[1:2]
	v_add3_u32 v4, v5, v6, v4
	v_add3_u32 v7, v10, v11, v3
	s_waitcnt lgkmcnt(0)
	v_mov_b32_e32 v3, s1
	v_add_co_u32_e32 v5, vcc, s0, v1
	v_addc_co_u32_e32 v6, vcc, v3, v2, vcc
	v_lshlrev_b64 v[1:2], 1, v[7:8]
	s_load_dwordx4 s[8:11], s[4:5], 0xb0
	s_load_dwordx8 s[36:43], s[4:5], 0x90
	v_mov_b32_e32 v3, s3
	v_add_co_u32_e32 v7, vcc, s2, v1
	v_addc_co_u32_e32 v8, vcc, v3, v2, vcc
	s_cmp_lg_u64 s[0:1], 0
	v_mul_lo_u32 v2, s23, v0
	s_cselect_b64 s[0:1], -1, 0
	s_mul_i32 s6, s6, s15
	v_cndmask_b32_e64 v1, 0, 1, s[0:1]
	s_mov_b64 s[4:5], 0
	s_mul_i32 s7, s6, s23
	s_sub_i32 s13, 0, s13
	v_cmp_ne_u32_e64 s[0:1], 1, v1
	s_waitcnt lgkmcnt(0)
	v_mov_b32_e32 v9, s37
	v_mov_b32_e32 v10, s39
	;; [unrolled: 1-line block ×6, first 2 shown]
	s_branch .LBB75_4
.LBB75_3:                               ;   in Loop: Header=BB75_4 Depth=1
	v_mul_hi_u32 v1, s18, v0
	v_add_u32_e32 v2, s7, v2
	v_add_u32_e32 v1, v0, v1
	v_lshrrev_b32_e32 v1, s19, v1
	v_mad_u64_u32 v[15:16], s[2:3], s13, v1, v[0:1]
	v_mul_lo_u32 v1, v15, s27
	v_add_co_u32_e32 v15, vcc, v1, v4
	v_addc_co_u32_e64 v16, s[2:3], 0, 0, vcc
	v_lshlrev_b64 v[15:16], 1, v[15:16]
	v_ashrrev_i32_e32 v1, 31, v0
	v_add_co_u32_e32 v17, vcc, s36, v15
	v_addc_co_u32_e32 v18, vcc, v9, v16, vcc
	v_add_co_u32_e32 v19, vcc, s38, v15
	v_addc_co_u32_e32 v20, vcc, v10, v16, vcc
	;; [unrolled: 2-line block ×6, first 2 shown]
	global_load_ushort v27, v[17:18], off
	global_load_ushort v28, v[19:20], off
	;; [unrolled: 1-line block ×6, first 2 shown]
	v_lshlrev_b64 v[15:16], 1, v[0:1]
	v_add_u32_e32 v0, s6, v0
	v_cmp_le_i32_e32 vcc, s12, v0
	v_add_co_u32_e64 v15, s[2:3], v7, v15
	v_addc_co_u32_e64 v16, s[2:3], v8, v16, s[2:3]
	s_or_b64 s[4:5], vcc, s[4:5]
	s_waitcnt vmcnt(5)
	v_cvt_f32_f16_e32 v1, v27
	s_waitcnt vmcnt(4)
	v_cvt_f32_f16_e32 v17, v28
	;; [unrolled: 2-line block ×5, first 2 shown]
	v_add_f32_e32 v1, v3, v1
	s_waitcnt vmcnt(0)
	v_cvt_f32_f16_e32 v21, v32
	v_add_f32_e32 v1, v1, v17
	v_add_f32_e32 v1, v1, v18
	v_add_f32_e32 v1, v1, v19
	v_add_f32_e32 v1, v1, v20
	v_add_f32_e32 v1, v1, v21
	v_cvt_f16_f32_e32 v1, v1
	global_store_short v[15:16], v1, off
	s_andn2_b64 exec, exec, s[4:5]
	s_cbranch_execz .LBB75_6
.LBB75_4:                               ; =>This Inner Loop Header: Depth=1
	s_and_b64 vcc, exec, s[0:1]
	v_mov_b32_e32 v3, 0
	s_cbranch_vccnz .LBB75_3
; %bb.5:                                ;   in Loop: Header=BB75_4 Depth=1
	v_ashrrev_i32_e32 v3, 31, v2
	v_lshlrev_b64 v[15:16], 1, v[2:3]
	v_add_co_u32_e32 v15, vcc, v5, v15
	v_addc_co_u32_e32 v16, vcc, v6, v16, vcc
	global_load_ushort v1, v[15:16], off
	s_waitcnt vmcnt(0)
	v_cvt_f32_f16_e32 v3, v1
	s_branch .LBB75_3
.LBB75_6:
	s_endpgm
	.section	.rodata,"a",@progbits
	.p2align	6, 0x0
	.amdhsa_kernel _ZL11k_bin_bcastIXadL_ZL6op_addffEE6__halfS0_S0_JPKS0_S2_S2_S2_S2_S2_EEvPKT0_PKT1_PT2_iii15HIP_vector_typeIjLj3EESC_SC_SC_SC_iiiiiiiiiiiDpT3_
		.amdhsa_group_segment_fixed_size 0
		.amdhsa_private_segment_fixed_size 0
		.amdhsa_kernarg_size 448
		.amdhsa_user_sgpr_count 6
		.amdhsa_user_sgpr_private_segment_buffer 1
		.amdhsa_user_sgpr_dispatch_ptr 0
		.amdhsa_user_sgpr_queue_ptr 0
		.amdhsa_user_sgpr_kernarg_segment_ptr 1
		.amdhsa_user_sgpr_dispatch_id 0
		.amdhsa_user_sgpr_flat_scratch_init 0
		.amdhsa_user_sgpr_private_segment_size 0
		.amdhsa_uses_dynamic_stack 0
		.amdhsa_system_sgpr_private_segment_wavefront_offset 0
		.amdhsa_system_sgpr_workgroup_id_x 1
		.amdhsa_system_sgpr_workgroup_id_y 1
		.amdhsa_system_sgpr_workgroup_id_z 1
		.amdhsa_system_sgpr_workgroup_info 0
		.amdhsa_system_vgpr_workitem_id 2
		.amdhsa_next_free_vgpr 33
		.amdhsa_next_free_sgpr 44
		.amdhsa_reserve_vcc 1
		.amdhsa_reserve_flat_scratch 0
		.amdhsa_float_round_mode_32 0
		.amdhsa_float_round_mode_16_64 0
		.amdhsa_float_denorm_mode_32 3
		.amdhsa_float_denorm_mode_16_64 3
		.amdhsa_dx10_clamp 1
		.amdhsa_ieee_mode 1
		.amdhsa_fp16_overflow 0
		.amdhsa_exception_fp_ieee_invalid_op 0
		.amdhsa_exception_fp_denorm_src 0
		.amdhsa_exception_fp_ieee_div_zero 0
		.amdhsa_exception_fp_ieee_overflow 0
		.amdhsa_exception_fp_ieee_underflow 0
		.amdhsa_exception_fp_ieee_inexact 0
		.amdhsa_exception_int_div_zero 0
	.end_amdhsa_kernel
	.section	.text._ZL11k_bin_bcastIXadL_ZL6op_addffEE6__halfS0_S0_JPKS0_S2_S2_S2_S2_S2_EEvPKT0_PKT1_PT2_iii15HIP_vector_typeIjLj3EESC_SC_SC_SC_iiiiiiiiiiiDpT3_,"axG",@progbits,_ZL11k_bin_bcastIXadL_ZL6op_addffEE6__halfS0_S0_JPKS0_S2_S2_S2_S2_S2_EEvPKT0_PKT1_PT2_iii15HIP_vector_typeIjLj3EESC_SC_SC_SC_iiiiiiiiiiiDpT3_,comdat
.Lfunc_end75:
	.size	_ZL11k_bin_bcastIXadL_ZL6op_addffEE6__halfS0_S0_JPKS0_S2_S2_S2_S2_S2_EEvPKT0_PKT1_PT2_iii15HIP_vector_typeIjLj3EESC_SC_SC_SC_iiiiiiiiiiiDpT3_, .Lfunc_end75-_ZL11k_bin_bcastIXadL_ZL6op_addffEE6__halfS0_S0_JPKS0_S2_S2_S2_S2_S2_EEvPKT0_PKT1_PT2_iii15HIP_vector_typeIjLj3EESC_SC_SC_SC_iiiiiiiiiiiDpT3_
                                        ; -- End function
	.set _ZL11k_bin_bcastIXadL_ZL6op_addffEE6__halfS0_S0_JPKS0_S2_S2_S2_S2_S2_EEvPKT0_PKT1_PT2_iii15HIP_vector_typeIjLj3EESC_SC_SC_SC_iiiiiiiiiiiDpT3_.num_vgpr, 33
	.set _ZL11k_bin_bcastIXadL_ZL6op_addffEE6__halfS0_S0_JPKS0_S2_S2_S2_S2_S2_EEvPKT0_PKT1_PT2_iii15HIP_vector_typeIjLj3EESC_SC_SC_SC_iiiiiiiiiiiDpT3_.num_agpr, 0
	.set _ZL11k_bin_bcastIXadL_ZL6op_addffEE6__halfS0_S0_JPKS0_S2_S2_S2_S2_S2_EEvPKT0_PKT1_PT2_iii15HIP_vector_typeIjLj3EESC_SC_SC_SC_iiiiiiiiiiiDpT3_.numbered_sgpr, 44
	.set _ZL11k_bin_bcastIXadL_ZL6op_addffEE6__halfS0_S0_JPKS0_S2_S2_S2_S2_S2_EEvPKT0_PKT1_PT2_iii15HIP_vector_typeIjLj3EESC_SC_SC_SC_iiiiiiiiiiiDpT3_.num_named_barrier, 0
	.set _ZL11k_bin_bcastIXadL_ZL6op_addffEE6__halfS0_S0_JPKS0_S2_S2_S2_S2_S2_EEvPKT0_PKT1_PT2_iii15HIP_vector_typeIjLj3EESC_SC_SC_SC_iiiiiiiiiiiDpT3_.private_seg_size, 0
	.set _ZL11k_bin_bcastIXadL_ZL6op_addffEE6__halfS0_S0_JPKS0_S2_S2_S2_S2_S2_EEvPKT0_PKT1_PT2_iii15HIP_vector_typeIjLj3EESC_SC_SC_SC_iiiiiiiiiiiDpT3_.uses_vcc, 1
	.set _ZL11k_bin_bcastIXadL_ZL6op_addffEE6__halfS0_S0_JPKS0_S2_S2_S2_S2_S2_EEvPKT0_PKT1_PT2_iii15HIP_vector_typeIjLj3EESC_SC_SC_SC_iiiiiiiiiiiDpT3_.uses_flat_scratch, 0
	.set _ZL11k_bin_bcastIXadL_ZL6op_addffEE6__halfS0_S0_JPKS0_S2_S2_S2_S2_S2_EEvPKT0_PKT1_PT2_iii15HIP_vector_typeIjLj3EESC_SC_SC_SC_iiiiiiiiiiiDpT3_.has_dyn_sized_stack, 0
	.set _ZL11k_bin_bcastIXadL_ZL6op_addffEE6__halfS0_S0_JPKS0_S2_S2_S2_S2_S2_EEvPKT0_PKT1_PT2_iii15HIP_vector_typeIjLj3EESC_SC_SC_SC_iiiiiiiiiiiDpT3_.has_recursion, 0
	.set _ZL11k_bin_bcastIXadL_ZL6op_addffEE6__halfS0_S0_JPKS0_S2_S2_S2_S2_S2_EEvPKT0_PKT1_PT2_iii15HIP_vector_typeIjLj3EESC_SC_SC_SC_iiiiiiiiiiiDpT3_.has_indirect_call, 0
	.section	.AMDGPU.csdata,"",@progbits
; Kernel info:
; codeLenInByte = 892
; TotalNumSgprs: 48
; NumVgprs: 33
; ScratchSize: 0
; MemoryBound: 0
; FloatMode: 240
; IeeeMode: 1
; LDSByteSize: 0 bytes/workgroup (compile time only)
; SGPRBlocks: 5
; VGPRBlocks: 8
; NumSGPRsForWavesPerEU: 48
; NumVGPRsForWavesPerEU: 33
; Occupancy: 7
; WaveLimiterHint : 1
; COMPUTE_PGM_RSRC2:SCRATCH_EN: 0
; COMPUTE_PGM_RSRC2:USER_SGPR: 6
; COMPUTE_PGM_RSRC2:TRAP_HANDLER: 0
; COMPUTE_PGM_RSRC2:TGID_X_EN: 1
; COMPUTE_PGM_RSRC2:TGID_Y_EN: 1
; COMPUTE_PGM_RSRC2:TGID_Z_EN: 1
; COMPUTE_PGM_RSRC2:TIDIG_COMP_CNT: 2
	.section	.text._ZL19k_bin_bcast_unravelIXadL_ZL6op_addffEE6__halffS0_JPKfS2_S2_S2_S2_S2_EEvPKT0_PKT1_PT2_15HIP_vector_typeIjLj3EESC_SC_jSC_SC_SC_SC_SC_SC_iiiiiiiiiiiDpT3_,"axG",@progbits,_ZL19k_bin_bcast_unravelIXadL_ZL6op_addffEE6__halffS0_JPKfS2_S2_S2_S2_S2_EEvPKT0_PKT1_PT2_15HIP_vector_typeIjLj3EESC_SC_jSC_SC_SC_SC_SC_SC_iiiiiiiiiiiDpT3_,comdat
	.globl	_ZL19k_bin_bcast_unravelIXadL_ZL6op_addffEE6__halffS0_JPKfS2_S2_S2_S2_S2_EEvPKT0_PKT1_PT2_15HIP_vector_typeIjLj3EESC_SC_jSC_SC_SC_SC_SC_SC_iiiiiiiiiiiDpT3_ ; -- Begin function _ZL19k_bin_bcast_unravelIXadL_ZL6op_addffEE6__halffS0_JPKfS2_S2_S2_S2_S2_EEvPKT0_PKT1_PT2_15HIP_vector_typeIjLj3EESC_SC_jSC_SC_SC_SC_SC_SC_iiiiiiiiiiiDpT3_
	.p2align	8
	.type	_ZL19k_bin_bcast_unravelIXadL_ZL6op_addffEE6__halffS0_JPKfS2_S2_S2_S2_S2_EEvPKT0_PKT1_PT2_15HIP_vector_typeIjLj3EESC_SC_jSC_SC_SC_SC_SC_SC_iiiiiiiiiiiDpT3_,@function
_ZL19k_bin_bcast_unravelIXadL_ZL6op_addffEE6__halffS0_JPKfS2_S2_S2_S2_S2_EEvPKT0_PKT1_PT2_15HIP_vector_typeIjLj3EESC_SC_jSC_SC_SC_SC_SC_SC_iiiiiiiiiiiDpT3_: ; @_ZL19k_bin_bcast_unravelIXadL_ZL6op_addffEE6__halffS0_JPKfS2_S2_S2_S2_S2_EEvPKT0_PKT1_PT2_15HIP_vector_typeIjLj3EESC_SC_jSC_SC_SC_SC_SC_SC_iiiiiiiiiiiDpT3_
; %bb.0:
	s_load_dword s0, s[4:5], 0xf4
	s_load_dwordx8 s[8:15], s[4:5], 0x38
	s_waitcnt lgkmcnt(0)
	s_and_b32 s0, s0, 0xffff
	s_mul_i32 s6, s6, s0
	v_add_u32_e32 v0, s6, v0
	v_mul_hi_u32 v1, v0, s10
	s_load_dwordx4 s[0:3], s[4:5], 0x18
	s_waitcnt lgkmcnt(0)
	s_load_dword s3, s[4:5], 0x2c
	v_add_u32_e32 v1, v0, v1
	v_lshrrev_b32_e32 v1, s11, v1
	v_mul_lo_u32 v2, v1, s12
	v_sub_u32_e32 v0, v0, v2
	v_mul_hi_u32 v2, v0, s13
	v_add_u32_e32 v2, v0, v2
	v_lshrrev_b32_e32 v3, s14, v2
	v_mul_lo_u32 v2, v3, s15
	v_cmp_gt_u32_e32 vcc, s8, v3
	v_sub_u32_e32 v0, v0, v2
	v_mul_hi_u32 v2, v0, s0
	v_add_u32_e32 v2, v0, v2
	v_lshrrev_b32_e32 v4, s1, v2
	v_mul_lo_u32 v2, v4, s2
	s_waitcnt lgkmcnt(0)
	v_cmp_gt_u32_e64 s[0:1], s3, v4
	v_sub_u32_e32 v0, v0, v2
	v_cmp_gt_u32_e64 s[2:3], s2, v0
	s_and_b64 s[0:1], s[2:3], s[0:1]
	s_and_b64 s[0:1], s[0:1], vcc
	v_cmp_gt_u32_e32 vcc, s9, v1
	s_and_b64 s[0:1], vcc, s[0:1]
	s_and_saveexec_b64 s[2:3], s[0:1]
	s_cbranch_execz .LBB76_4
; %bb.1:
	s_load_dwordx2 s[6:7], s[4:5], 0x0
	s_load_dwordx4 s[0:3], s[4:5], 0xa8
	s_load_dwordx8 s[8:15], s[4:5], 0x88
	s_load_dwordx4 s[24:27], s[4:5], 0x78
	s_load_dwordx8 s[16:23], s[4:5], 0x58
	v_mov_b32_e32 v2, 0
	s_waitcnt lgkmcnt(0)
	s_cmp_eq_u64 s[6:7], 0
	v_mov_b32_e32 v5, 0
	s_cbranch_scc1 .LBB76_3
; %bb.2:
	v_mul_lo_u32 v5, v1, s14
	v_mul_lo_u32 v7, v3, s13
	;; [unrolled: 1-line block ×3, first 2 shown]
	v_mov_b32_e32 v6, 0
	v_mov_b32_e32 v9, s7
	v_add3_u32 v5, v7, v5, v8
	v_lshlrev_b64 v[7:8], 1, v[5:6]
	v_mul_lo_u32 v5, v0, s11
	v_add_co_u32_e32 v7, vcc, s6, v7
	v_addc_co_u32_e32 v8, vcc, v9, v8, vcc
	v_lshlrev_b64 v[5:6], 1, v[5:6]
	v_add_co_u32_e32 v5, vcc, v7, v5
	v_addc_co_u32_e32 v6, vcc, v8, v6, vcc
	global_load_ushort v5, v[5:6], off
	s_waitcnt vmcnt(0)
	v_cvt_f32_f16_e32 v5, v5
.LBB76_3:
	v_mul_hi_u32 v6, s19, v4
	v_mul_hi_u32 v7, s22, v3
	v_mul_hi_u32 v8, s25, v1
	v_mul_hi_u32 v9, s16, v0
	v_add_u32_e32 v6, v4, v6
	v_add_u32_e32 v7, v3, v7
	;; [unrolled: 1-line block ×3, first 2 shown]
	v_lshrrev_b32_e32 v6, s20, v6
	v_lshrrev_b32_e32 v7, s23, v7
	;; [unrolled: 1-line block ×3, first 2 shown]
	v_mul_lo_u32 v6, v6, s21
	v_mul_lo_u32 v7, v7, s24
	;; [unrolled: 1-line block ×3, first 2 shown]
	v_add_u32_e32 v9, v0, v9
	v_sub_u32_e32 v6, v4, v6
	v_sub_u32_e32 v7, v3, v7
	;; [unrolled: 1-line block ×3, first 2 shown]
	v_lshrrev_b32_e32 v9, s17, v9
	v_mul_lo_u32 v8, v8, s2
	v_mul_lo_u32 v7, v7, s1
	;; [unrolled: 1-line block ×5, first 2 shown]
	v_add3_u32 v6, v7, v8, v6
	v_sub_u32_e32 v7, v0, v9
	v_mul_lo_u32 v7, v7, s15
	s_load_dwordx4 s[0:3], s[4:5], 0xd8
	s_load_dwordx8 s[12:19], s[4:5], 0xb8
	v_ashrrev_i32_e32 v8, 31, v6
	v_ashrrev_i32_e32 v9, 31, v7
	v_add_co_u32_e32 v6, vcc, v7, v6
	v_addc_co_u32_e32 v7, vcc, v9, v8, vcc
	v_lshlrev_b64 v[6:7], 2, v[6:7]
	s_waitcnt lgkmcnt(0)
	v_mov_b32_e32 v9, s13
	v_add_co_u32_e32 v8, vcc, s12, v6
	v_addc_co_u32_e32 v9, vcc, v9, v7, vcc
	global_load_dword v10, v[8:9], off
	v_mov_b32_e32 v9, s15
	v_add_co_u32_e32 v8, vcc, s14, v6
	v_addc_co_u32_e32 v9, vcc, v9, v7, vcc
	global_load_dword v11, v[8:9], off
	v_mov_b32_e32 v9, s17
	v_add_co_u32_e32 v8, vcc, s16, v6
	v_addc_co_u32_e32 v9, vcc, v9, v7, vcc
	global_load_dword v12, v[8:9], off
	v_mov_b32_e32 v9, s19
	v_add_co_u32_e32 v8, vcc, s18, v6
	v_addc_co_u32_e32 v9, vcc, v9, v7, vcc
	global_load_dword v13, v[8:9], off
	v_mov_b32_e32 v9, s1
	v_add_co_u32_e32 v8, vcc, s0, v6
	v_addc_co_u32_e32 v9, vcc, v9, v7, vcc
	global_load_dword v8, v[8:9], off
	v_mov_b32_e32 v9, s3
	v_add_co_u32_e32 v6, vcc, s2, v6
	v_addc_co_u32_e32 v7, vcc, v9, v7, vcc
	global_load_dword v6, v[6:7], off
	v_mul_lo_u32 v7, v1, s10
	v_mul_lo_u32 v9, v3, s9
	s_load_dwordx2 s[0:1], s[4:5], 0x10
	v_mov_b32_e32 v1, v2
	v_lshlrev_b64 v[3:4], 1, v[0:1]
	v_add3_u32 v1, v9, v7, v14
	v_lshlrev_b64 v[0:1], 1, v[1:2]
	s_waitcnt lgkmcnt(0)
	v_mov_b32_e32 v2, s1
	v_add_co_u32_e32 v0, vcc, s0, v0
	v_addc_co_u32_e32 v1, vcc, v2, v1, vcc
	v_add_co_u32_e32 v0, vcc, v0, v3
	v_addc_co_u32_e32 v1, vcc, v1, v4, vcc
	s_waitcnt vmcnt(5)
	v_add_f32_e32 v2, v5, v10
	s_waitcnt vmcnt(4)
	v_add_f32_e32 v2, v2, v11
	;; [unrolled: 2-line block ×6, first 2 shown]
	v_cvt_f16_f32_e32 v2, v2
	global_store_short v[0:1], v2, off
.LBB76_4:
	s_endpgm
	.section	.rodata,"a",@progbits
	.p2align	6, 0x0
	.amdhsa_kernel _ZL19k_bin_bcast_unravelIXadL_ZL6op_addffEE6__halffS0_JPKfS2_S2_S2_S2_S2_EEvPKT0_PKT1_PT2_15HIP_vector_typeIjLj3EESC_SC_jSC_SC_SC_SC_SC_SC_iiiiiiiiiiiDpT3_
		.amdhsa_group_segment_fixed_size 0
		.amdhsa_private_segment_fixed_size 0
		.amdhsa_kernarg_size 488
		.amdhsa_user_sgpr_count 6
		.amdhsa_user_sgpr_private_segment_buffer 1
		.amdhsa_user_sgpr_dispatch_ptr 0
		.amdhsa_user_sgpr_queue_ptr 0
		.amdhsa_user_sgpr_kernarg_segment_ptr 1
		.amdhsa_user_sgpr_dispatch_id 0
		.amdhsa_user_sgpr_flat_scratch_init 0
		.amdhsa_user_sgpr_private_segment_size 0
		.amdhsa_uses_dynamic_stack 0
		.amdhsa_system_sgpr_private_segment_wavefront_offset 0
		.amdhsa_system_sgpr_workgroup_id_x 1
		.amdhsa_system_sgpr_workgroup_id_y 0
		.amdhsa_system_sgpr_workgroup_id_z 0
		.amdhsa_system_sgpr_workgroup_info 0
		.amdhsa_system_vgpr_workitem_id 0
		.amdhsa_next_free_vgpr 15
		.amdhsa_next_free_sgpr 28
		.amdhsa_reserve_vcc 1
		.amdhsa_reserve_flat_scratch 0
		.amdhsa_float_round_mode_32 0
		.amdhsa_float_round_mode_16_64 0
		.amdhsa_float_denorm_mode_32 3
		.amdhsa_float_denorm_mode_16_64 3
		.amdhsa_dx10_clamp 1
		.amdhsa_ieee_mode 1
		.amdhsa_fp16_overflow 0
		.amdhsa_exception_fp_ieee_invalid_op 0
		.amdhsa_exception_fp_denorm_src 0
		.amdhsa_exception_fp_ieee_div_zero 0
		.amdhsa_exception_fp_ieee_overflow 0
		.amdhsa_exception_fp_ieee_underflow 0
		.amdhsa_exception_fp_ieee_inexact 0
		.amdhsa_exception_int_div_zero 0
	.end_amdhsa_kernel
	.section	.text._ZL19k_bin_bcast_unravelIXadL_ZL6op_addffEE6__halffS0_JPKfS2_S2_S2_S2_S2_EEvPKT0_PKT1_PT2_15HIP_vector_typeIjLj3EESC_SC_jSC_SC_SC_SC_SC_SC_iiiiiiiiiiiDpT3_,"axG",@progbits,_ZL19k_bin_bcast_unravelIXadL_ZL6op_addffEE6__halffS0_JPKfS2_S2_S2_S2_S2_EEvPKT0_PKT1_PT2_15HIP_vector_typeIjLj3EESC_SC_jSC_SC_SC_SC_SC_SC_iiiiiiiiiiiDpT3_,comdat
.Lfunc_end76:
	.size	_ZL19k_bin_bcast_unravelIXadL_ZL6op_addffEE6__halffS0_JPKfS2_S2_S2_S2_S2_EEvPKT0_PKT1_PT2_15HIP_vector_typeIjLj3EESC_SC_jSC_SC_SC_SC_SC_SC_iiiiiiiiiiiDpT3_, .Lfunc_end76-_ZL19k_bin_bcast_unravelIXadL_ZL6op_addffEE6__halffS0_JPKfS2_S2_S2_S2_S2_EEvPKT0_PKT1_PT2_15HIP_vector_typeIjLj3EESC_SC_jSC_SC_SC_SC_SC_SC_iiiiiiiiiiiDpT3_
                                        ; -- End function
	.set _ZL19k_bin_bcast_unravelIXadL_ZL6op_addffEE6__halffS0_JPKfS2_S2_S2_S2_S2_EEvPKT0_PKT1_PT2_15HIP_vector_typeIjLj3EESC_SC_jSC_SC_SC_SC_SC_SC_iiiiiiiiiiiDpT3_.num_vgpr, 15
	.set _ZL19k_bin_bcast_unravelIXadL_ZL6op_addffEE6__halffS0_JPKfS2_S2_S2_S2_S2_EEvPKT0_PKT1_PT2_15HIP_vector_typeIjLj3EESC_SC_jSC_SC_SC_SC_SC_SC_iiiiiiiiiiiDpT3_.num_agpr, 0
	.set _ZL19k_bin_bcast_unravelIXadL_ZL6op_addffEE6__halffS0_JPKfS2_S2_S2_S2_S2_EEvPKT0_PKT1_PT2_15HIP_vector_typeIjLj3EESC_SC_jSC_SC_SC_SC_SC_SC_iiiiiiiiiiiDpT3_.numbered_sgpr, 28
	.set _ZL19k_bin_bcast_unravelIXadL_ZL6op_addffEE6__halffS0_JPKfS2_S2_S2_S2_S2_EEvPKT0_PKT1_PT2_15HIP_vector_typeIjLj3EESC_SC_jSC_SC_SC_SC_SC_SC_iiiiiiiiiiiDpT3_.num_named_barrier, 0
	.set _ZL19k_bin_bcast_unravelIXadL_ZL6op_addffEE6__halffS0_JPKfS2_S2_S2_S2_S2_EEvPKT0_PKT1_PT2_15HIP_vector_typeIjLj3EESC_SC_jSC_SC_SC_SC_SC_SC_iiiiiiiiiiiDpT3_.private_seg_size, 0
	.set _ZL19k_bin_bcast_unravelIXadL_ZL6op_addffEE6__halffS0_JPKfS2_S2_S2_S2_S2_EEvPKT0_PKT1_PT2_15HIP_vector_typeIjLj3EESC_SC_jSC_SC_SC_SC_SC_SC_iiiiiiiiiiiDpT3_.uses_vcc, 1
	.set _ZL19k_bin_bcast_unravelIXadL_ZL6op_addffEE6__halffS0_JPKfS2_S2_S2_S2_S2_EEvPKT0_PKT1_PT2_15HIP_vector_typeIjLj3EESC_SC_jSC_SC_SC_SC_SC_SC_iiiiiiiiiiiDpT3_.uses_flat_scratch, 0
	.set _ZL19k_bin_bcast_unravelIXadL_ZL6op_addffEE6__halffS0_JPKfS2_S2_S2_S2_S2_EEvPKT0_PKT1_PT2_15HIP_vector_typeIjLj3EESC_SC_jSC_SC_SC_SC_SC_SC_iiiiiiiiiiiDpT3_.has_dyn_sized_stack, 0
	.set _ZL19k_bin_bcast_unravelIXadL_ZL6op_addffEE6__halffS0_JPKfS2_S2_S2_S2_S2_EEvPKT0_PKT1_PT2_15HIP_vector_typeIjLj3EESC_SC_jSC_SC_SC_SC_SC_SC_iiiiiiiiiiiDpT3_.has_recursion, 0
	.set _ZL19k_bin_bcast_unravelIXadL_ZL6op_addffEE6__halffS0_JPKfS2_S2_S2_S2_S2_EEvPKT0_PKT1_PT2_15HIP_vector_typeIjLj3EESC_SC_jSC_SC_SC_SC_SC_SC_iiiiiiiiiiiDpT3_.has_indirect_call, 0
	.section	.AMDGPU.csdata,"",@progbits
; Kernel info:
; codeLenInByte = 808
; TotalNumSgprs: 32
; NumVgprs: 15
; ScratchSize: 0
; MemoryBound: 0
; FloatMode: 240
; IeeeMode: 1
; LDSByteSize: 0 bytes/workgroup (compile time only)
; SGPRBlocks: 3
; VGPRBlocks: 3
; NumSGPRsForWavesPerEU: 32
; NumVGPRsForWavesPerEU: 15
; Occupancy: 10
; WaveLimiterHint : 1
; COMPUTE_PGM_RSRC2:SCRATCH_EN: 0
; COMPUTE_PGM_RSRC2:USER_SGPR: 6
; COMPUTE_PGM_RSRC2:TRAP_HANDLER: 0
; COMPUTE_PGM_RSRC2:TGID_X_EN: 1
; COMPUTE_PGM_RSRC2:TGID_Y_EN: 0
; COMPUTE_PGM_RSRC2:TGID_Z_EN: 0
; COMPUTE_PGM_RSRC2:TIDIG_COMP_CNT: 0
	.section	.text._ZL11k_bin_bcastIXadL_ZL6op_addffEE6__halffS0_JPKfS2_S2_S2_S2_S2_EEvPKT0_PKT1_PT2_iii15HIP_vector_typeIjLj3EESC_SC_SC_SC_iiiiiiiiiiiDpT3_,"axG",@progbits,_ZL11k_bin_bcastIXadL_ZL6op_addffEE6__halffS0_JPKfS2_S2_S2_S2_S2_EEvPKT0_PKT1_PT2_iii15HIP_vector_typeIjLj3EESC_SC_SC_SC_iiiiiiiiiiiDpT3_,comdat
	.globl	_ZL11k_bin_bcastIXadL_ZL6op_addffEE6__halffS0_JPKfS2_S2_S2_S2_S2_EEvPKT0_PKT1_PT2_iii15HIP_vector_typeIjLj3EESC_SC_SC_SC_iiiiiiiiiiiDpT3_ ; -- Begin function _ZL11k_bin_bcastIXadL_ZL6op_addffEE6__halffS0_JPKfS2_S2_S2_S2_S2_EEvPKT0_PKT1_PT2_iii15HIP_vector_typeIjLj3EESC_SC_SC_SC_iiiiiiiiiiiDpT3_
	.p2align	8
	.type	_ZL11k_bin_bcastIXadL_ZL6op_addffEE6__halffS0_JPKfS2_S2_S2_S2_S2_EEvPKT0_PKT1_PT2_iii15HIP_vector_typeIjLj3EESC_SC_SC_SC_iiiiiiiiiiiDpT3_,@function
_ZL11k_bin_bcastIXadL_ZL6op_addffEE6__halffS0_JPKfS2_S2_S2_S2_S2_EEvPKT0_PKT1_PT2_iii15HIP_vector_typeIjLj3EESC_SC_SC_SC_iiiiiiiiiiiDpT3_: ; @_ZL11k_bin_bcastIXadL_ZL6op_addffEE6__halffS0_JPKfS2_S2_S2_S2_S2_EEvPKT0_PKT1_PT2_iii15HIP_vector_typeIjLj3EESC_SC_SC_SC_iiiiiiiiiiiDpT3_
; %bb.0:
	s_load_dwordx2 s[0:1], s[4:5], 0xcc
	s_load_dwordx8 s[12:19], s[4:5], 0x18
	s_add_u32 s2, s4, 0xc0
	s_addc_u32 s3, s5, 0
	s_waitcnt lgkmcnt(0)
	s_and_b32 s1, s1, 0xffff
	s_mul_i32 s8, s8, s1
	v_add_u32_e32 v3, s8, v2
	v_mul_hi_u32 v2, v3, s15
	s_lshr_b32 s1, s0, 16
	s_and_b32 s15, s0, 0xffff
	s_mul_i32 s6, s6, s15
	v_add_u32_e32 v2, v3, v2
	v_lshrrev_b32_e32 v2, s16, v2
	v_mul_lo_u32 v4, v2, s17
	s_mul_i32 s7, s7, s1
	v_add_u32_e32 v0, s6, v0
	v_add_u32_e32 v1, s7, v1
	v_cmp_gt_u32_e32 vcc, s12, v0
	v_cmp_gt_u32_e64 s[0:1], s13, v1
	v_sub_u32_e32 v3, v3, v4
	s_and_b64 s[0:1], vcc, s[0:1]
	v_cmp_gt_u32_e32 vcc, s14, v2
	s_and_b64 s[0:1], s[0:1], vcc
	v_cmp_gt_u32_e32 vcc, s17, v3
	s_and_b64 s[0:1], s[0:1], vcc
	s_and_saveexec_b64 s[6:7], s[0:1]
	s_cbranch_execz .LBB77_6
; %bb.1:
	v_cmp_gt_i32_e32 vcc, s12, v0
	s_and_b64 exec, exec, vcc
	s_cbranch_execz .LBB77_6
; %bb.2:
	s_load_dwordx8 s[36:43], s[4:5], 0x3c
	s_load_dwordx8 s[20:27], s[4:5], 0x60
	s_load_dwordx4 s[8:11], s[4:5], 0x80
	s_load_dword s6, s[2:3], 0x0
	s_load_dword s0, s[4:5], 0x5c
	s_waitcnt lgkmcnt(0)
	v_mul_hi_u32 v4, s36, v1
	v_mul_hi_u32 v5, s39, v2
	v_mul_hi_u32 v6, s42, v3
	v_mul_lo_u32 v7, v3, s26
	v_add_u32_e32 v4, v1, v4
	v_add_u32_e32 v5, v2, v5
	;; [unrolled: 1-line block ×3, first 2 shown]
	v_lshrrev_b32_e32 v4, s37, v4
	v_lshrrev_b32_e32 v5, s40, v5
	;; [unrolled: 1-line block ×3, first 2 shown]
	v_mul_lo_u32 v4, v4, s38
	v_mul_lo_u32 v5, v5, s41
	v_mul_lo_u32 v6, v6, s0
	v_mul_lo_u32 v8, v2, s25
	v_mul_lo_u32 v9, v1, s24
	v_sub_u32_e32 v4, v1, v4
	v_sub_u32_e32 v5, v2, v5
	;; [unrolled: 1-line block ×3, first 2 shown]
	s_load_dword s13, s[4:5], 0x38
	s_load_dwordx2 s[0:1], s[4:5], 0x0
	s_load_dwordx2 s[2:3], s[4:5], 0x10
	v_mul_lo_u32 v6, v6, s10
	v_mul_lo_u32 v5, v5, s9
	;; [unrolled: 1-line block ×6, first 2 shown]
	v_add3_u32 v1, v8, v9, v7
	v_mov_b32_e32 v2, 0
	v_mov_b32_e32 v8, v2
	v_lshlrev_b64 v[1:2], 1, v[1:2]
	v_add3_u32 v4, v5, v6, v4
	v_add3_u32 v7, v10, v11, v3
	s_waitcnt lgkmcnt(0)
	v_mov_b32_e32 v3, s1
	v_add_co_u32_e32 v5, vcc, s0, v1
	v_addc_co_u32_e32 v6, vcc, v3, v2, vcc
	v_lshlrev_b64 v[1:2], 1, v[7:8]
	s_load_dwordx4 s[8:11], s[4:5], 0xb0
	s_load_dwordx8 s[36:43], s[4:5], 0x90
	v_mov_b32_e32 v3, s3
	v_add_co_u32_e32 v7, vcc, s2, v1
	v_addc_co_u32_e32 v8, vcc, v3, v2, vcc
	s_cmp_lg_u64 s[0:1], 0
	v_mul_lo_u32 v2, s23, v0
	s_cselect_b64 s[0:1], -1, 0
	s_mul_i32 s6, s6, s15
	v_cndmask_b32_e64 v1, 0, 1, s[0:1]
	s_mov_b64 s[4:5], 0
	s_mul_i32 s7, s6, s23
	s_sub_i32 s13, 0, s13
	v_cmp_ne_u32_e64 s[0:1], 1, v1
	s_waitcnt lgkmcnt(0)
	v_mov_b32_e32 v9, s37
	v_mov_b32_e32 v10, s39
	;; [unrolled: 1-line block ×6, first 2 shown]
	s_branch .LBB77_4
.LBB77_3:                               ;   in Loop: Header=BB77_4 Depth=1
	v_mul_hi_u32 v1, s18, v0
	v_add_u32_e32 v2, s7, v2
	v_add_u32_e32 v1, v0, v1
	v_lshrrev_b32_e32 v1, s19, v1
	v_mad_u64_u32 v[15:16], s[2:3], s13, v1, v[0:1]
	v_mul_lo_u32 v1, v15, s27
	v_add_co_u32_e32 v15, vcc, v1, v4
	v_addc_co_u32_e64 v16, s[2:3], 0, 0, vcc
	v_lshlrev_b64 v[15:16], 2, v[15:16]
	v_ashrrev_i32_e32 v1, 31, v0
	v_add_co_u32_e32 v17, vcc, s36, v15
	v_addc_co_u32_e32 v18, vcc, v9, v16, vcc
	v_add_co_u32_e32 v19, vcc, s38, v15
	v_addc_co_u32_e32 v20, vcc, v10, v16, vcc
	;; [unrolled: 2-line block ×6, first 2 shown]
	global_load_dword v27, v[17:18], off
	global_load_dword v28, v[19:20], off
	;; [unrolled: 1-line block ×6, first 2 shown]
	v_lshlrev_b64 v[15:16], 1, v[0:1]
	v_add_u32_e32 v0, s6, v0
	v_cmp_le_i32_e32 vcc, s12, v0
	v_add_co_u32_e64 v15, s[2:3], v7, v15
	v_addc_co_u32_e64 v16, s[2:3], v8, v16, s[2:3]
	s_or_b64 s[4:5], vcc, s[4:5]
	s_waitcnt vmcnt(5)
	v_add_f32_e32 v1, v3, v27
	s_waitcnt vmcnt(4)
	v_add_f32_e32 v1, v1, v28
	;; [unrolled: 2-line block ×6, first 2 shown]
	v_cvt_f16_f32_e32 v1, v1
	global_store_short v[15:16], v1, off
	s_andn2_b64 exec, exec, s[4:5]
	s_cbranch_execz .LBB77_6
.LBB77_4:                               ; =>This Inner Loop Header: Depth=1
	s_and_b64 vcc, exec, s[0:1]
	v_mov_b32_e32 v3, 0
	s_cbranch_vccnz .LBB77_3
; %bb.5:                                ;   in Loop: Header=BB77_4 Depth=1
	v_ashrrev_i32_e32 v3, 31, v2
	v_lshlrev_b64 v[15:16], 1, v[2:3]
	v_add_co_u32_e32 v15, vcc, v5, v15
	v_addc_co_u32_e32 v16, vcc, v6, v16, vcc
	global_load_ushort v1, v[15:16], off
	s_waitcnt vmcnt(0)
	v_cvt_f32_f16_e32 v3, v1
	s_branch .LBB77_3
.LBB77_6:
	s_endpgm
	.section	.rodata,"a",@progbits
	.p2align	6, 0x0
	.amdhsa_kernel _ZL11k_bin_bcastIXadL_ZL6op_addffEE6__halffS0_JPKfS2_S2_S2_S2_S2_EEvPKT0_PKT1_PT2_iii15HIP_vector_typeIjLj3EESC_SC_SC_SC_iiiiiiiiiiiDpT3_
		.amdhsa_group_segment_fixed_size 0
		.amdhsa_private_segment_fixed_size 0
		.amdhsa_kernarg_size 448
		.amdhsa_user_sgpr_count 6
		.amdhsa_user_sgpr_private_segment_buffer 1
		.amdhsa_user_sgpr_dispatch_ptr 0
		.amdhsa_user_sgpr_queue_ptr 0
		.amdhsa_user_sgpr_kernarg_segment_ptr 1
		.amdhsa_user_sgpr_dispatch_id 0
		.amdhsa_user_sgpr_flat_scratch_init 0
		.amdhsa_user_sgpr_private_segment_size 0
		.amdhsa_uses_dynamic_stack 0
		.amdhsa_system_sgpr_private_segment_wavefront_offset 0
		.amdhsa_system_sgpr_workgroup_id_x 1
		.amdhsa_system_sgpr_workgroup_id_y 1
		.amdhsa_system_sgpr_workgroup_id_z 1
		.amdhsa_system_sgpr_workgroup_info 0
		.amdhsa_system_vgpr_workitem_id 2
		.amdhsa_next_free_vgpr 33
		.amdhsa_next_free_sgpr 44
		.amdhsa_reserve_vcc 1
		.amdhsa_reserve_flat_scratch 0
		.amdhsa_float_round_mode_32 0
		.amdhsa_float_round_mode_16_64 0
		.amdhsa_float_denorm_mode_32 3
		.amdhsa_float_denorm_mode_16_64 3
		.amdhsa_dx10_clamp 1
		.amdhsa_ieee_mode 1
		.amdhsa_fp16_overflow 0
		.amdhsa_exception_fp_ieee_invalid_op 0
		.amdhsa_exception_fp_denorm_src 0
		.amdhsa_exception_fp_ieee_div_zero 0
		.amdhsa_exception_fp_ieee_overflow 0
		.amdhsa_exception_fp_ieee_underflow 0
		.amdhsa_exception_fp_ieee_inexact 0
		.amdhsa_exception_int_div_zero 0
	.end_amdhsa_kernel
	.section	.text._ZL11k_bin_bcastIXadL_ZL6op_addffEE6__halffS0_JPKfS2_S2_S2_S2_S2_EEvPKT0_PKT1_PT2_iii15HIP_vector_typeIjLj3EESC_SC_SC_SC_iiiiiiiiiiiDpT3_,"axG",@progbits,_ZL11k_bin_bcastIXadL_ZL6op_addffEE6__halffS0_JPKfS2_S2_S2_S2_S2_EEvPKT0_PKT1_PT2_iii15HIP_vector_typeIjLj3EESC_SC_SC_SC_iiiiiiiiiiiDpT3_,comdat
.Lfunc_end77:
	.size	_ZL11k_bin_bcastIXadL_ZL6op_addffEE6__halffS0_JPKfS2_S2_S2_S2_S2_EEvPKT0_PKT1_PT2_iii15HIP_vector_typeIjLj3EESC_SC_SC_SC_iiiiiiiiiiiDpT3_, .Lfunc_end77-_ZL11k_bin_bcastIXadL_ZL6op_addffEE6__halffS0_JPKfS2_S2_S2_S2_S2_EEvPKT0_PKT1_PT2_iii15HIP_vector_typeIjLj3EESC_SC_SC_SC_iiiiiiiiiiiDpT3_
                                        ; -- End function
	.set _ZL11k_bin_bcastIXadL_ZL6op_addffEE6__halffS0_JPKfS2_S2_S2_S2_S2_EEvPKT0_PKT1_PT2_iii15HIP_vector_typeIjLj3EESC_SC_SC_SC_iiiiiiiiiiiDpT3_.num_vgpr, 33
	.set _ZL11k_bin_bcastIXadL_ZL6op_addffEE6__halffS0_JPKfS2_S2_S2_S2_S2_EEvPKT0_PKT1_PT2_iii15HIP_vector_typeIjLj3EESC_SC_SC_SC_iiiiiiiiiiiDpT3_.num_agpr, 0
	.set _ZL11k_bin_bcastIXadL_ZL6op_addffEE6__halffS0_JPKfS2_S2_S2_S2_S2_EEvPKT0_PKT1_PT2_iii15HIP_vector_typeIjLj3EESC_SC_SC_SC_iiiiiiiiiiiDpT3_.numbered_sgpr, 44
	.set _ZL11k_bin_bcastIXadL_ZL6op_addffEE6__halffS0_JPKfS2_S2_S2_S2_S2_EEvPKT0_PKT1_PT2_iii15HIP_vector_typeIjLj3EESC_SC_SC_SC_iiiiiiiiiiiDpT3_.num_named_barrier, 0
	.set _ZL11k_bin_bcastIXadL_ZL6op_addffEE6__halffS0_JPKfS2_S2_S2_S2_S2_EEvPKT0_PKT1_PT2_iii15HIP_vector_typeIjLj3EESC_SC_SC_SC_iiiiiiiiiiiDpT3_.private_seg_size, 0
	.set _ZL11k_bin_bcastIXadL_ZL6op_addffEE6__halffS0_JPKfS2_S2_S2_S2_S2_EEvPKT0_PKT1_PT2_iii15HIP_vector_typeIjLj3EESC_SC_SC_SC_iiiiiiiiiiiDpT3_.uses_vcc, 1
	.set _ZL11k_bin_bcastIXadL_ZL6op_addffEE6__halffS0_JPKfS2_S2_S2_S2_S2_EEvPKT0_PKT1_PT2_iii15HIP_vector_typeIjLj3EESC_SC_SC_SC_iiiiiiiiiiiDpT3_.uses_flat_scratch, 0
	.set _ZL11k_bin_bcastIXadL_ZL6op_addffEE6__halffS0_JPKfS2_S2_S2_S2_S2_EEvPKT0_PKT1_PT2_iii15HIP_vector_typeIjLj3EESC_SC_SC_SC_iiiiiiiiiiiDpT3_.has_dyn_sized_stack, 0
	.set _ZL11k_bin_bcastIXadL_ZL6op_addffEE6__halffS0_JPKfS2_S2_S2_S2_S2_EEvPKT0_PKT1_PT2_iii15HIP_vector_typeIjLj3EESC_SC_SC_SC_iiiiiiiiiiiDpT3_.has_recursion, 0
	.set _ZL11k_bin_bcastIXadL_ZL6op_addffEE6__halffS0_JPKfS2_S2_S2_S2_S2_EEvPKT0_PKT1_PT2_iii15HIP_vector_typeIjLj3EESC_SC_SC_SC_iiiiiiiiiiiDpT3_.has_indirect_call, 0
	.section	.AMDGPU.csdata,"",@progbits
; Kernel info:
; codeLenInByte = 868
; TotalNumSgprs: 48
; NumVgprs: 33
; ScratchSize: 0
; MemoryBound: 0
; FloatMode: 240
; IeeeMode: 1
; LDSByteSize: 0 bytes/workgroup (compile time only)
; SGPRBlocks: 5
; VGPRBlocks: 8
; NumSGPRsForWavesPerEU: 48
; NumVGPRsForWavesPerEU: 33
; Occupancy: 7
; WaveLimiterHint : 1
; COMPUTE_PGM_RSRC2:SCRATCH_EN: 0
; COMPUTE_PGM_RSRC2:USER_SGPR: 6
; COMPUTE_PGM_RSRC2:TRAP_HANDLER: 0
; COMPUTE_PGM_RSRC2:TGID_X_EN: 1
; COMPUTE_PGM_RSRC2:TGID_Y_EN: 1
; COMPUTE_PGM_RSRC2:TGID_Z_EN: 1
; COMPUTE_PGM_RSRC2:TIDIG_COMP_CNT: 2
	.section	.text._ZL19k_bin_bcast_unravelIXadL_ZL6op_addffEE6__halfffJPKfS2_S2_S2_S2_S2_EEvPKT0_PKT1_PT2_15HIP_vector_typeIjLj3EESC_SC_jSC_SC_SC_SC_SC_SC_iiiiiiiiiiiDpT3_,"axG",@progbits,_ZL19k_bin_bcast_unravelIXadL_ZL6op_addffEE6__halfffJPKfS2_S2_S2_S2_S2_EEvPKT0_PKT1_PT2_15HIP_vector_typeIjLj3EESC_SC_jSC_SC_SC_SC_SC_SC_iiiiiiiiiiiDpT3_,comdat
	.globl	_ZL19k_bin_bcast_unravelIXadL_ZL6op_addffEE6__halfffJPKfS2_S2_S2_S2_S2_EEvPKT0_PKT1_PT2_15HIP_vector_typeIjLj3EESC_SC_jSC_SC_SC_SC_SC_SC_iiiiiiiiiiiDpT3_ ; -- Begin function _ZL19k_bin_bcast_unravelIXadL_ZL6op_addffEE6__halfffJPKfS2_S2_S2_S2_S2_EEvPKT0_PKT1_PT2_15HIP_vector_typeIjLj3EESC_SC_jSC_SC_SC_SC_SC_SC_iiiiiiiiiiiDpT3_
	.p2align	8
	.type	_ZL19k_bin_bcast_unravelIXadL_ZL6op_addffEE6__halfffJPKfS2_S2_S2_S2_S2_EEvPKT0_PKT1_PT2_15HIP_vector_typeIjLj3EESC_SC_jSC_SC_SC_SC_SC_SC_iiiiiiiiiiiDpT3_,@function
_ZL19k_bin_bcast_unravelIXadL_ZL6op_addffEE6__halfffJPKfS2_S2_S2_S2_S2_EEvPKT0_PKT1_PT2_15HIP_vector_typeIjLj3EESC_SC_jSC_SC_SC_SC_SC_SC_iiiiiiiiiiiDpT3_: ; @_ZL19k_bin_bcast_unravelIXadL_ZL6op_addffEE6__halfffJPKfS2_S2_S2_S2_S2_EEvPKT0_PKT1_PT2_15HIP_vector_typeIjLj3EESC_SC_jSC_SC_SC_SC_SC_SC_iiiiiiiiiiiDpT3_
; %bb.0:
	s_load_dword s0, s[4:5], 0xf4
	s_load_dwordx8 s[8:15], s[4:5], 0x38
	s_waitcnt lgkmcnt(0)
	s_and_b32 s0, s0, 0xffff
	s_mul_i32 s6, s6, s0
	v_add_u32_e32 v0, s6, v0
	v_mul_hi_u32 v1, v0, s10
	s_load_dwordx4 s[0:3], s[4:5], 0x18
	s_waitcnt lgkmcnt(0)
	s_load_dword s3, s[4:5], 0x2c
	v_add_u32_e32 v1, v0, v1
	v_lshrrev_b32_e32 v1, s11, v1
	v_mul_lo_u32 v2, v1, s12
	v_sub_u32_e32 v0, v0, v2
	v_mul_hi_u32 v2, v0, s13
	v_add_u32_e32 v2, v0, v2
	v_lshrrev_b32_e32 v3, s14, v2
	v_mul_lo_u32 v2, v3, s15
	v_cmp_gt_u32_e32 vcc, s8, v3
	v_sub_u32_e32 v0, v0, v2
	v_mul_hi_u32 v2, v0, s0
	v_add_u32_e32 v2, v0, v2
	v_lshrrev_b32_e32 v4, s1, v2
	v_mul_lo_u32 v2, v4, s2
	s_waitcnt lgkmcnt(0)
	v_cmp_gt_u32_e64 s[0:1], s3, v4
	v_sub_u32_e32 v0, v0, v2
	v_cmp_gt_u32_e64 s[2:3], s2, v0
	s_and_b64 s[0:1], s[2:3], s[0:1]
	s_and_b64 s[0:1], s[0:1], vcc
	v_cmp_gt_u32_e32 vcc, s9, v1
	s_and_b64 s[0:1], vcc, s[0:1]
	s_and_saveexec_b64 s[2:3], s[0:1]
	s_cbranch_execz .LBB78_4
; %bb.1:
	s_load_dwordx2 s[6:7], s[4:5], 0x0
	s_load_dwordx4 s[0:3], s[4:5], 0xa8
	s_load_dwordx8 s[8:15], s[4:5], 0x88
	s_load_dwordx4 s[24:27], s[4:5], 0x78
	s_load_dwordx8 s[16:23], s[4:5], 0x58
	v_mov_b32_e32 v2, 0
	s_waitcnt lgkmcnt(0)
	s_cmp_eq_u64 s[6:7], 0
	v_mov_b32_e32 v5, 0
	s_cbranch_scc1 .LBB78_3
; %bb.2:
	v_mul_lo_u32 v5, v1, s14
	v_mul_lo_u32 v7, v3, s13
	;; [unrolled: 1-line block ×3, first 2 shown]
	v_mov_b32_e32 v6, 0
	v_mov_b32_e32 v9, s7
	v_add3_u32 v5, v7, v5, v8
	v_lshlrev_b64 v[7:8], 1, v[5:6]
	v_mul_lo_u32 v5, v0, s11
	v_add_co_u32_e32 v7, vcc, s6, v7
	v_addc_co_u32_e32 v8, vcc, v9, v8, vcc
	v_lshlrev_b64 v[5:6], 1, v[5:6]
	v_add_co_u32_e32 v5, vcc, v7, v5
	v_addc_co_u32_e32 v6, vcc, v8, v6, vcc
	global_load_ushort v5, v[5:6], off
	s_waitcnt vmcnt(0)
	v_cvt_f32_f16_e32 v5, v5
.LBB78_3:
	v_mul_hi_u32 v6, s19, v4
	v_mul_hi_u32 v7, s22, v3
	;; [unrolled: 1-line block ×4, first 2 shown]
	v_add_u32_e32 v6, v4, v6
	v_add_u32_e32 v7, v3, v7
	;; [unrolled: 1-line block ×3, first 2 shown]
	v_lshrrev_b32_e32 v6, s20, v6
	v_lshrrev_b32_e32 v7, s23, v7
	;; [unrolled: 1-line block ×3, first 2 shown]
	v_mul_lo_u32 v6, v6, s21
	v_mul_lo_u32 v7, v7, s24
	;; [unrolled: 1-line block ×3, first 2 shown]
	v_add_u32_e32 v9, v0, v9
	v_sub_u32_e32 v6, v4, v6
	v_sub_u32_e32 v7, v3, v7
	;; [unrolled: 1-line block ×3, first 2 shown]
	v_lshrrev_b32_e32 v9, s17, v9
	v_mul_lo_u32 v8, v8, s2
	v_mul_lo_u32 v7, v7, s1
	;; [unrolled: 1-line block ×5, first 2 shown]
	v_add3_u32 v6, v7, v8, v6
	v_sub_u32_e32 v7, v0, v9
	v_mul_lo_u32 v7, v7, s15
	s_load_dwordx4 s[0:3], s[4:5], 0xd8
	s_load_dwordx8 s[12:19], s[4:5], 0xb8
	v_ashrrev_i32_e32 v8, 31, v6
	v_ashrrev_i32_e32 v9, 31, v7
	v_add_co_u32_e32 v6, vcc, v7, v6
	v_addc_co_u32_e32 v7, vcc, v9, v8, vcc
	v_lshlrev_b64 v[6:7], 2, v[6:7]
	s_waitcnt lgkmcnt(0)
	v_mov_b32_e32 v9, s13
	v_add_co_u32_e32 v8, vcc, s12, v6
	v_addc_co_u32_e32 v9, vcc, v9, v7, vcc
	global_load_dword v10, v[8:9], off
	v_mov_b32_e32 v9, s15
	v_add_co_u32_e32 v8, vcc, s14, v6
	v_addc_co_u32_e32 v9, vcc, v9, v7, vcc
	global_load_dword v11, v[8:9], off
	;; [unrolled: 4-line block ×6, first 2 shown]
	v_mul_lo_u32 v7, v1, s10
	v_mul_lo_u32 v9, v3, s9
	s_load_dwordx2 s[0:1], s[4:5], 0x10
	v_mov_b32_e32 v1, v2
	v_lshlrev_b64 v[3:4], 2, v[0:1]
	v_add3_u32 v1, v9, v7, v14
	v_lshlrev_b64 v[0:1], 2, v[1:2]
	s_waitcnt lgkmcnt(0)
	v_mov_b32_e32 v2, s1
	v_add_co_u32_e32 v0, vcc, s0, v0
	v_addc_co_u32_e32 v1, vcc, v2, v1, vcc
	v_add_co_u32_e32 v0, vcc, v0, v3
	v_addc_co_u32_e32 v1, vcc, v1, v4, vcc
	s_waitcnt vmcnt(5)
	v_add_f32_e32 v2, v5, v10
	s_waitcnt vmcnt(4)
	v_add_f32_e32 v2, v2, v11
	s_waitcnt vmcnt(3)
	v_add_f32_e32 v2, v2, v12
	s_waitcnt vmcnt(2)
	v_add_f32_e32 v2, v2, v13
	s_waitcnt vmcnt(1)
	v_add_f32_e32 v2, v2, v8
	s_waitcnt vmcnt(0)
	v_add_f32_e32 v2, v2, v6
	global_store_dword v[0:1], v2, off
.LBB78_4:
	s_endpgm
	.section	.rodata,"a",@progbits
	.p2align	6, 0x0
	.amdhsa_kernel _ZL19k_bin_bcast_unravelIXadL_ZL6op_addffEE6__halfffJPKfS2_S2_S2_S2_S2_EEvPKT0_PKT1_PT2_15HIP_vector_typeIjLj3EESC_SC_jSC_SC_SC_SC_SC_SC_iiiiiiiiiiiDpT3_
		.amdhsa_group_segment_fixed_size 0
		.amdhsa_private_segment_fixed_size 0
		.amdhsa_kernarg_size 488
		.amdhsa_user_sgpr_count 6
		.amdhsa_user_sgpr_private_segment_buffer 1
		.amdhsa_user_sgpr_dispatch_ptr 0
		.amdhsa_user_sgpr_queue_ptr 0
		.amdhsa_user_sgpr_kernarg_segment_ptr 1
		.amdhsa_user_sgpr_dispatch_id 0
		.amdhsa_user_sgpr_flat_scratch_init 0
		.amdhsa_user_sgpr_private_segment_size 0
		.amdhsa_uses_dynamic_stack 0
		.amdhsa_system_sgpr_private_segment_wavefront_offset 0
		.amdhsa_system_sgpr_workgroup_id_x 1
		.amdhsa_system_sgpr_workgroup_id_y 0
		.amdhsa_system_sgpr_workgroup_id_z 0
		.amdhsa_system_sgpr_workgroup_info 0
		.amdhsa_system_vgpr_workitem_id 0
		.amdhsa_next_free_vgpr 15
		.amdhsa_next_free_sgpr 28
		.amdhsa_reserve_vcc 1
		.amdhsa_reserve_flat_scratch 0
		.amdhsa_float_round_mode_32 0
		.amdhsa_float_round_mode_16_64 0
		.amdhsa_float_denorm_mode_32 3
		.amdhsa_float_denorm_mode_16_64 3
		.amdhsa_dx10_clamp 1
		.amdhsa_ieee_mode 1
		.amdhsa_fp16_overflow 0
		.amdhsa_exception_fp_ieee_invalid_op 0
		.amdhsa_exception_fp_denorm_src 0
		.amdhsa_exception_fp_ieee_div_zero 0
		.amdhsa_exception_fp_ieee_overflow 0
		.amdhsa_exception_fp_ieee_underflow 0
		.amdhsa_exception_fp_ieee_inexact 0
		.amdhsa_exception_int_div_zero 0
	.end_amdhsa_kernel
	.section	.text._ZL19k_bin_bcast_unravelIXadL_ZL6op_addffEE6__halfffJPKfS2_S2_S2_S2_S2_EEvPKT0_PKT1_PT2_15HIP_vector_typeIjLj3EESC_SC_jSC_SC_SC_SC_SC_SC_iiiiiiiiiiiDpT3_,"axG",@progbits,_ZL19k_bin_bcast_unravelIXadL_ZL6op_addffEE6__halfffJPKfS2_S2_S2_S2_S2_EEvPKT0_PKT1_PT2_15HIP_vector_typeIjLj3EESC_SC_jSC_SC_SC_SC_SC_SC_iiiiiiiiiiiDpT3_,comdat
.Lfunc_end78:
	.size	_ZL19k_bin_bcast_unravelIXadL_ZL6op_addffEE6__halfffJPKfS2_S2_S2_S2_S2_EEvPKT0_PKT1_PT2_15HIP_vector_typeIjLj3EESC_SC_jSC_SC_SC_SC_SC_SC_iiiiiiiiiiiDpT3_, .Lfunc_end78-_ZL19k_bin_bcast_unravelIXadL_ZL6op_addffEE6__halfffJPKfS2_S2_S2_S2_S2_EEvPKT0_PKT1_PT2_15HIP_vector_typeIjLj3EESC_SC_jSC_SC_SC_SC_SC_SC_iiiiiiiiiiiDpT3_
                                        ; -- End function
	.set _ZL19k_bin_bcast_unravelIXadL_ZL6op_addffEE6__halfffJPKfS2_S2_S2_S2_S2_EEvPKT0_PKT1_PT2_15HIP_vector_typeIjLj3EESC_SC_jSC_SC_SC_SC_SC_SC_iiiiiiiiiiiDpT3_.num_vgpr, 15
	.set _ZL19k_bin_bcast_unravelIXadL_ZL6op_addffEE6__halfffJPKfS2_S2_S2_S2_S2_EEvPKT0_PKT1_PT2_15HIP_vector_typeIjLj3EESC_SC_jSC_SC_SC_SC_SC_SC_iiiiiiiiiiiDpT3_.num_agpr, 0
	.set _ZL19k_bin_bcast_unravelIXadL_ZL6op_addffEE6__halfffJPKfS2_S2_S2_S2_S2_EEvPKT0_PKT1_PT2_15HIP_vector_typeIjLj3EESC_SC_jSC_SC_SC_SC_SC_SC_iiiiiiiiiiiDpT3_.numbered_sgpr, 28
	.set _ZL19k_bin_bcast_unravelIXadL_ZL6op_addffEE6__halfffJPKfS2_S2_S2_S2_S2_EEvPKT0_PKT1_PT2_15HIP_vector_typeIjLj3EESC_SC_jSC_SC_SC_SC_SC_SC_iiiiiiiiiiiDpT3_.num_named_barrier, 0
	.set _ZL19k_bin_bcast_unravelIXadL_ZL6op_addffEE6__halfffJPKfS2_S2_S2_S2_S2_EEvPKT0_PKT1_PT2_15HIP_vector_typeIjLj3EESC_SC_jSC_SC_SC_SC_SC_SC_iiiiiiiiiiiDpT3_.private_seg_size, 0
	.set _ZL19k_bin_bcast_unravelIXadL_ZL6op_addffEE6__halfffJPKfS2_S2_S2_S2_S2_EEvPKT0_PKT1_PT2_15HIP_vector_typeIjLj3EESC_SC_jSC_SC_SC_SC_SC_SC_iiiiiiiiiiiDpT3_.uses_vcc, 1
	.set _ZL19k_bin_bcast_unravelIXadL_ZL6op_addffEE6__halfffJPKfS2_S2_S2_S2_S2_EEvPKT0_PKT1_PT2_15HIP_vector_typeIjLj3EESC_SC_jSC_SC_SC_SC_SC_SC_iiiiiiiiiiiDpT3_.uses_flat_scratch, 0
	.set _ZL19k_bin_bcast_unravelIXadL_ZL6op_addffEE6__halfffJPKfS2_S2_S2_S2_S2_EEvPKT0_PKT1_PT2_15HIP_vector_typeIjLj3EESC_SC_jSC_SC_SC_SC_SC_SC_iiiiiiiiiiiDpT3_.has_dyn_sized_stack, 0
	.set _ZL19k_bin_bcast_unravelIXadL_ZL6op_addffEE6__halfffJPKfS2_S2_S2_S2_S2_EEvPKT0_PKT1_PT2_15HIP_vector_typeIjLj3EESC_SC_jSC_SC_SC_SC_SC_SC_iiiiiiiiiiiDpT3_.has_recursion, 0
	.set _ZL19k_bin_bcast_unravelIXadL_ZL6op_addffEE6__halfffJPKfS2_S2_S2_S2_S2_EEvPKT0_PKT1_PT2_15HIP_vector_typeIjLj3EESC_SC_jSC_SC_SC_SC_SC_SC_iiiiiiiiiiiDpT3_.has_indirect_call, 0
	.section	.AMDGPU.csdata,"",@progbits
; Kernel info:
; codeLenInByte = 804
; TotalNumSgprs: 32
; NumVgprs: 15
; ScratchSize: 0
; MemoryBound: 0
; FloatMode: 240
; IeeeMode: 1
; LDSByteSize: 0 bytes/workgroup (compile time only)
; SGPRBlocks: 3
; VGPRBlocks: 3
; NumSGPRsForWavesPerEU: 32
; NumVGPRsForWavesPerEU: 15
; Occupancy: 10
; WaveLimiterHint : 1
; COMPUTE_PGM_RSRC2:SCRATCH_EN: 0
; COMPUTE_PGM_RSRC2:USER_SGPR: 6
; COMPUTE_PGM_RSRC2:TRAP_HANDLER: 0
; COMPUTE_PGM_RSRC2:TGID_X_EN: 1
; COMPUTE_PGM_RSRC2:TGID_Y_EN: 0
; COMPUTE_PGM_RSRC2:TGID_Z_EN: 0
; COMPUTE_PGM_RSRC2:TIDIG_COMP_CNT: 0
	.section	.text._ZL11k_bin_bcastIXadL_ZL6op_addffEE6__halfffJPKfS2_S2_S2_S2_S2_EEvPKT0_PKT1_PT2_iii15HIP_vector_typeIjLj3EESC_SC_SC_SC_iiiiiiiiiiiDpT3_,"axG",@progbits,_ZL11k_bin_bcastIXadL_ZL6op_addffEE6__halfffJPKfS2_S2_S2_S2_S2_EEvPKT0_PKT1_PT2_iii15HIP_vector_typeIjLj3EESC_SC_SC_SC_iiiiiiiiiiiDpT3_,comdat
	.globl	_ZL11k_bin_bcastIXadL_ZL6op_addffEE6__halfffJPKfS2_S2_S2_S2_S2_EEvPKT0_PKT1_PT2_iii15HIP_vector_typeIjLj3EESC_SC_SC_SC_iiiiiiiiiiiDpT3_ ; -- Begin function _ZL11k_bin_bcastIXadL_ZL6op_addffEE6__halfffJPKfS2_S2_S2_S2_S2_EEvPKT0_PKT1_PT2_iii15HIP_vector_typeIjLj3EESC_SC_SC_SC_iiiiiiiiiiiDpT3_
	.p2align	8
	.type	_ZL11k_bin_bcastIXadL_ZL6op_addffEE6__halfffJPKfS2_S2_S2_S2_S2_EEvPKT0_PKT1_PT2_iii15HIP_vector_typeIjLj3EESC_SC_SC_SC_iiiiiiiiiiiDpT3_,@function
_ZL11k_bin_bcastIXadL_ZL6op_addffEE6__halfffJPKfS2_S2_S2_S2_S2_EEvPKT0_PKT1_PT2_iii15HIP_vector_typeIjLj3EESC_SC_SC_SC_iiiiiiiiiiiDpT3_: ; @_ZL11k_bin_bcastIXadL_ZL6op_addffEE6__halfffJPKfS2_S2_S2_S2_S2_EEvPKT0_PKT1_PT2_iii15HIP_vector_typeIjLj3EESC_SC_SC_SC_iiiiiiiiiiiDpT3_
; %bb.0:
	s_load_dwordx2 s[0:1], s[4:5], 0xcc
	s_load_dwordx8 s[12:19], s[4:5], 0x18
	s_add_u32 s2, s4, 0xc0
	s_addc_u32 s3, s5, 0
	s_waitcnt lgkmcnt(0)
	s_and_b32 s1, s1, 0xffff
	s_mul_i32 s8, s8, s1
	v_add_u32_e32 v3, s8, v2
	v_mul_hi_u32 v2, v3, s15
	s_lshr_b32 s1, s0, 16
	s_and_b32 s15, s0, 0xffff
	s_mul_i32 s6, s6, s15
	v_add_u32_e32 v2, v3, v2
	v_lshrrev_b32_e32 v2, s16, v2
	v_mul_lo_u32 v4, v2, s17
	s_mul_i32 s7, s7, s1
	v_add_u32_e32 v0, s6, v0
	v_add_u32_e32 v1, s7, v1
	v_cmp_gt_u32_e32 vcc, s12, v0
	v_cmp_gt_u32_e64 s[0:1], s13, v1
	v_sub_u32_e32 v3, v3, v4
	s_and_b64 s[0:1], vcc, s[0:1]
	v_cmp_gt_u32_e32 vcc, s14, v2
	s_and_b64 s[0:1], s[0:1], vcc
	v_cmp_gt_u32_e32 vcc, s17, v3
	s_and_b64 s[0:1], s[0:1], vcc
	s_and_saveexec_b64 s[6:7], s[0:1]
	s_cbranch_execz .LBB79_6
; %bb.1:
	v_cmp_gt_i32_e32 vcc, s12, v0
	s_and_b64 exec, exec, vcc
	s_cbranch_execz .LBB79_6
; %bb.2:
	s_load_dwordx8 s[36:43], s[4:5], 0x3c
	s_load_dwordx8 s[20:27], s[4:5], 0x60
	s_load_dwordx4 s[8:11], s[4:5], 0x80
	s_load_dword s6, s[2:3], 0x0
	s_load_dword s0, s[4:5], 0x5c
	s_waitcnt lgkmcnt(0)
	v_mul_hi_u32 v4, s36, v1
	v_mul_hi_u32 v5, s39, v2
	;; [unrolled: 1-line block ×3, first 2 shown]
	v_mul_lo_u32 v7, v3, s26
	v_add_u32_e32 v4, v1, v4
	v_add_u32_e32 v5, v2, v5
	;; [unrolled: 1-line block ×3, first 2 shown]
	v_lshrrev_b32_e32 v4, s37, v4
	v_lshrrev_b32_e32 v5, s40, v5
	;; [unrolled: 1-line block ×3, first 2 shown]
	v_mul_lo_u32 v4, v4, s38
	v_mul_lo_u32 v5, v5, s41
	;; [unrolled: 1-line block ×5, first 2 shown]
	v_sub_u32_e32 v4, v1, v4
	v_sub_u32_e32 v5, v2, v5
	;; [unrolled: 1-line block ×3, first 2 shown]
	s_load_dword s13, s[4:5], 0x38
	s_load_dwordx2 s[0:1], s[4:5], 0x0
	s_load_dwordx2 s[2:3], s[4:5], 0x10
	v_mul_lo_u32 v6, v6, s10
	v_mul_lo_u32 v5, v5, s9
	;; [unrolled: 1-line block ×6, first 2 shown]
	v_add3_u32 v1, v8, v9, v7
	v_mov_b32_e32 v2, 0
	v_mov_b32_e32 v8, v2
	v_lshlrev_b64 v[1:2], 1, v[1:2]
	v_add3_u32 v4, v5, v6, v4
	v_add3_u32 v7, v10, v11, v3
	s_waitcnt lgkmcnt(0)
	v_mov_b32_e32 v3, s1
	v_add_co_u32_e32 v5, vcc, s0, v1
	v_addc_co_u32_e32 v6, vcc, v3, v2, vcc
	v_lshlrev_b64 v[1:2], 2, v[7:8]
	s_load_dwordx4 s[8:11], s[4:5], 0xb0
	s_load_dwordx8 s[36:43], s[4:5], 0x90
	v_mov_b32_e32 v3, s3
	v_add_co_u32_e32 v7, vcc, s2, v1
	v_addc_co_u32_e32 v8, vcc, v3, v2, vcc
	s_cmp_lg_u64 s[0:1], 0
	v_mul_lo_u32 v2, s23, v0
	s_cselect_b64 s[0:1], -1, 0
	s_mul_i32 s6, s6, s15
	v_cndmask_b32_e64 v1, 0, 1, s[0:1]
	s_mov_b64 s[4:5], 0
	s_mul_i32 s7, s6, s23
	s_sub_i32 s13, 0, s13
	v_cmp_ne_u32_e64 s[0:1], 1, v1
	s_waitcnt lgkmcnt(0)
	v_mov_b32_e32 v9, s37
	v_mov_b32_e32 v10, s39
	;; [unrolled: 1-line block ×6, first 2 shown]
	s_branch .LBB79_4
.LBB79_3:                               ;   in Loop: Header=BB79_4 Depth=1
	v_mul_hi_u32 v1, s18, v0
	v_add_u32_e32 v2, s7, v2
	v_add_u32_e32 v1, v0, v1
	v_lshrrev_b32_e32 v1, s19, v1
	v_mad_u64_u32 v[15:16], s[2:3], s13, v1, v[0:1]
	v_mul_lo_u32 v1, v15, s27
	v_add_co_u32_e32 v15, vcc, v1, v4
	v_addc_co_u32_e64 v16, s[2:3], 0, 0, vcc
	v_lshlrev_b64 v[15:16], 2, v[15:16]
	v_ashrrev_i32_e32 v1, 31, v0
	v_add_co_u32_e32 v17, vcc, s36, v15
	v_addc_co_u32_e32 v18, vcc, v9, v16, vcc
	v_add_co_u32_e32 v19, vcc, s38, v15
	v_addc_co_u32_e32 v20, vcc, v10, v16, vcc
	;; [unrolled: 2-line block ×6, first 2 shown]
	global_load_dword v27, v[17:18], off
	global_load_dword v28, v[19:20], off
	;; [unrolled: 1-line block ×6, first 2 shown]
	v_lshlrev_b64 v[15:16], 2, v[0:1]
	v_add_u32_e32 v0, s6, v0
	v_cmp_le_i32_e32 vcc, s12, v0
	v_add_co_u32_e64 v15, s[2:3], v7, v15
	v_addc_co_u32_e64 v16, s[2:3], v8, v16, s[2:3]
	s_or_b64 s[4:5], vcc, s[4:5]
	s_waitcnt vmcnt(5)
	v_add_f32_e32 v1, v3, v27
	s_waitcnt vmcnt(4)
	v_add_f32_e32 v1, v1, v28
	;; [unrolled: 2-line block ×6, first 2 shown]
	global_store_dword v[15:16], v1, off
	s_andn2_b64 exec, exec, s[4:5]
	s_cbranch_execz .LBB79_6
.LBB79_4:                               ; =>This Inner Loop Header: Depth=1
	s_and_b64 vcc, exec, s[0:1]
	v_mov_b32_e32 v3, 0
	s_cbranch_vccnz .LBB79_3
; %bb.5:                                ;   in Loop: Header=BB79_4 Depth=1
	v_ashrrev_i32_e32 v3, 31, v2
	v_lshlrev_b64 v[15:16], 1, v[2:3]
	v_add_co_u32_e32 v15, vcc, v5, v15
	v_addc_co_u32_e32 v16, vcc, v6, v16, vcc
	global_load_ushort v1, v[15:16], off
	s_waitcnt vmcnt(0)
	v_cvt_f32_f16_e32 v3, v1
	s_branch .LBB79_3
.LBB79_6:
	s_endpgm
	.section	.rodata,"a",@progbits
	.p2align	6, 0x0
	.amdhsa_kernel _ZL11k_bin_bcastIXadL_ZL6op_addffEE6__halfffJPKfS2_S2_S2_S2_S2_EEvPKT0_PKT1_PT2_iii15HIP_vector_typeIjLj3EESC_SC_SC_SC_iiiiiiiiiiiDpT3_
		.amdhsa_group_segment_fixed_size 0
		.amdhsa_private_segment_fixed_size 0
		.amdhsa_kernarg_size 448
		.amdhsa_user_sgpr_count 6
		.amdhsa_user_sgpr_private_segment_buffer 1
		.amdhsa_user_sgpr_dispatch_ptr 0
		.amdhsa_user_sgpr_queue_ptr 0
		.amdhsa_user_sgpr_kernarg_segment_ptr 1
		.amdhsa_user_sgpr_dispatch_id 0
		.amdhsa_user_sgpr_flat_scratch_init 0
		.amdhsa_user_sgpr_private_segment_size 0
		.amdhsa_uses_dynamic_stack 0
		.amdhsa_system_sgpr_private_segment_wavefront_offset 0
		.amdhsa_system_sgpr_workgroup_id_x 1
		.amdhsa_system_sgpr_workgroup_id_y 1
		.amdhsa_system_sgpr_workgroup_id_z 1
		.amdhsa_system_sgpr_workgroup_info 0
		.amdhsa_system_vgpr_workitem_id 2
		.amdhsa_next_free_vgpr 33
		.amdhsa_next_free_sgpr 44
		.amdhsa_reserve_vcc 1
		.amdhsa_reserve_flat_scratch 0
		.amdhsa_float_round_mode_32 0
		.amdhsa_float_round_mode_16_64 0
		.amdhsa_float_denorm_mode_32 3
		.amdhsa_float_denorm_mode_16_64 3
		.amdhsa_dx10_clamp 1
		.amdhsa_ieee_mode 1
		.amdhsa_fp16_overflow 0
		.amdhsa_exception_fp_ieee_invalid_op 0
		.amdhsa_exception_fp_denorm_src 0
		.amdhsa_exception_fp_ieee_div_zero 0
		.amdhsa_exception_fp_ieee_overflow 0
		.amdhsa_exception_fp_ieee_underflow 0
		.amdhsa_exception_fp_ieee_inexact 0
		.amdhsa_exception_int_div_zero 0
	.end_amdhsa_kernel
	.section	.text._ZL11k_bin_bcastIXadL_ZL6op_addffEE6__halfffJPKfS2_S2_S2_S2_S2_EEvPKT0_PKT1_PT2_iii15HIP_vector_typeIjLj3EESC_SC_SC_SC_iiiiiiiiiiiDpT3_,"axG",@progbits,_ZL11k_bin_bcastIXadL_ZL6op_addffEE6__halfffJPKfS2_S2_S2_S2_S2_EEvPKT0_PKT1_PT2_iii15HIP_vector_typeIjLj3EESC_SC_SC_SC_iiiiiiiiiiiDpT3_,comdat
.Lfunc_end79:
	.size	_ZL11k_bin_bcastIXadL_ZL6op_addffEE6__halfffJPKfS2_S2_S2_S2_S2_EEvPKT0_PKT1_PT2_iii15HIP_vector_typeIjLj3EESC_SC_SC_SC_iiiiiiiiiiiDpT3_, .Lfunc_end79-_ZL11k_bin_bcastIXadL_ZL6op_addffEE6__halfffJPKfS2_S2_S2_S2_S2_EEvPKT0_PKT1_PT2_iii15HIP_vector_typeIjLj3EESC_SC_SC_SC_iiiiiiiiiiiDpT3_
                                        ; -- End function
	.set _ZL11k_bin_bcastIXadL_ZL6op_addffEE6__halfffJPKfS2_S2_S2_S2_S2_EEvPKT0_PKT1_PT2_iii15HIP_vector_typeIjLj3EESC_SC_SC_SC_iiiiiiiiiiiDpT3_.num_vgpr, 33
	.set _ZL11k_bin_bcastIXadL_ZL6op_addffEE6__halfffJPKfS2_S2_S2_S2_S2_EEvPKT0_PKT1_PT2_iii15HIP_vector_typeIjLj3EESC_SC_SC_SC_iiiiiiiiiiiDpT3_.num_agpr, 0
	.set _ZL11k_bin_bcastIXadL_ZL6op_addffEE6__halfffJPKfS2_S2_S2_S2_S2_EEvPKT0_PKT1_PT2_iii15HIP_vector_typeIjLj3EESC_SC_SC_SC_iiiiiiiiiiiDpT3_.numbered_sgpr, 44
	.set _ZL11k_bin_bcastIXadL_ZL6op_addffEE6__halfffJPKfS2_S2_S2_S2_S2_EEvPKT0_PKT1_PT2_iii15HIP_vector_typeIjLj3EESC_SC_SC_SC_iiiiiiiiiiiDpT3_.num_named_barrier, 0
	.set _ZL11k_bin_bcastIXadL_ZL6op_addffEE6__halfffJPKfS2_S2_S2_S2_S2_EEvPKT0_PKT1_PT2_iii15HIP_vector_typeIjLj3EESC_SC_SC_SC_iiiiiiiiiiiDpT3_.private_seg_size, 0
	.set _ZL11k_bin_bcastIXadL_ZL6op_addffEE6__halfffJPKfS2_S2_S2_S2_S2_EEvPKT0_PKT1_PT2_iii15HIP_vector_typeIjLj3EESC_SC_SC_SC_iiiiiiiiiiiDpT3_.uses_vcc, 1
	.set _ZL11k_bin_bcastIXadL_ZL6op_addffEE6__halfffJPKfS2_S2_S2_S2_S2_EEvPKT0_PKT1_PT2_iii15HIP_vector_typeIjLj3EESC_SC_SC_SC_iiiiiiiiiiiDpT3_.uses_flat_scratch, 0
	.set _ZL11k_bin_bcastIXadL_ZL6op_addffEE6__halfffJPKfS2_S2_S2_S2_S2_EEvPKT0_PKT1_PT2_iii15HIP_vector_typeIjLj3EESC_SC_SC_SC_iiiiiiiiiiiDpT3_.has_dyn_sized_stack, 0
	.set _ZL11k_bin_bcastIXadL_ZL6op_addffEE6__halfffJPKfS2_S2_S2_S2_S2_EEvPKT0_PKT1_PT2_iii15HIP_vector_typeIjLj3EESC_SC_SC_SC_iiiiiiiiiiiDpT3_.has_recursion, 0
	.set _ZL11k_bin_bcastIXadL_ZL6op_addffEE6__halfffJPKfS2_S2_S2_S2_S2_EEvPKT0_PKT1_PT2_iii15HIP_vector_typeIjLj3EESC_SC_SC_SC_iiiiiiiiiiiDpT3_.has_indirect_call, 0
	.section	.AMDGPU.csdata,"",@progbits
; Kernel info:
; codeLenInByte = 864
; TotalNumSgprs: 48
; NumVgprs: 33
; ScratchSize: 0
; MemoryBound: 0
; FloatMode: 240
; IeeeMode: 1
; LDSByteSize: 0 bytes/workgroup (compile time only)
; SGPRBlocks: 5
; VGPRBlocks: 8
; NumSGPRsForWavesPerEU: 48
; NumVGPRsForWavesPerEU: 33
; Occupancy: 7
; WaveLimiterHint : 1
; COMPUTE_PGM_RSRC2:SCRATCH_EN: 0
; COMPUTE_PGM_RSRC2:USER_SGPR: 6
; COMPUTE_PGM_RSRC2:TRAP_HANDLER: 0
; COMPUTE_PGM_RSRC2:TGID_X_EN: 1
; COMPUTE_PGM_RSRC2:TGID_Y_EN: 1
; COMPUTE_PGM_RSRC2:TGID_Z_EN: 1
; COMPUTE_PGM_RSRC2:TIDIG_COMP_CNT: 2
	.section	.text._ZL19k_bin_bcast_unravelIXadL_ZL6op_addffEEfffJPKfS1_S1_S1_S1_S1_S1_EEvPKT0_PKT1_PT2_15HIP_vector_typeIjLj3EESB_SB_jSB_SB_SB_SB_SB_SB_iiiiiiiiiiiDpT3_,"axG",@progbits,_ZL19k_bin_bcast_unravelIXadL_ZL6op_addffEEfffJPKfS1_S1_S1_S1_S1_S1_EEvPKT0_PKT1_PT2_15HIP_vector_typeIjLj3EESB_SB_jSB_SB_SB_SB_SB_SB_iiiiiiiiiiiDpT3_,comdat
	.globl	_ZL19k_bin_bcast_unravelIXadL_ZL6op_addffEEfffJPKfS1_S1_S1_S1_S1_S1_EEvPKT0_PKT1_PT2_15HIP_vector_typeIjLj3EESB_SB_jSB_SB_SB_SB_SB_SB_iiiiiiiiiiiDpT3_ ; -- Begin function _ZL19k_bin_bcast_unravelIXadL_ZL6op_addffEEfffJPKfS1_S1_S1_S1_S1_S1_EEvPKT0_PKT1_PT2_15HIP_vector_typeIjLj3EESB_SB_jSB_SB_SB_SB_SB_SB_iiiiiiiiiiiDpT3_
	.p2align	8
	.type	_ZL19k_bin_bcast_unravelIXadL_ZL6op_addffEEfffJPKfS1_S1_S1_S1_S1_S1_EEvPKT0_PKT1_PT2_15HIP_vector_typeIjLj3EESB_SB_jSB_SB_SB_SB_SB_SB_iiiiiiiiiiiDpT3_,@function
_ZL19k_bin_bcast_unravelIXadL_ZL6op_addffEEfffJPKfS1_S1_S1_S1_S1_S1_EEvPKT0_PKT1_PT2_15HIP_vector_typeIjLj3EESB_SB_jSB_SB_SB_SB_SB_SB_iiiiiiiiiiiDpT3_: ; @_ZL19k_bin_bcast_unravelIXadL_ZL6op_addffEEfffJPKfS1_S1_S1_S1_S1_S1_EEvPKT0_PKT1_PT2_15HIP_vector_typeIjLj3EESB_SB_jSB_SB_SB_SB_SB_SB_iiiiiiiiiiiDpT3_
; %bb.0:
	s_load_dword s0, s[4:5], 0xfc
	s_load_dwordx8 s[8:15], s[4:5], 0x38
	s_waitcnt lgkmcnt(0)
	s_and_b32 s0, s0, 0xffff
	s_mul_i32 s6, s6, s0
	v_add_u32_e32 v0, s6, v0
	v_mul_hi_u32 v1, v0, s10
	s_load_dwordx4 s[0:3], s[4:5], 0x18
	s_waitcnt lgkmcnt(0)
	s_load_dword s3, s[4:5], 0x2c
	v_add_u32_e32 v1, v0, v1
	v_lshrrev_b32_e32 v1, s11, v1
	v_mul_lo_u32 v2, v1, s12
	v_sub_u32_e32 v0, v0, v2
	v_mul_hi_u32 v2, v0, s13
	v_add_u32_e32 v2, v0, v2
	v_lshrrev_b32_e32 v3, s14, v2
	v_mul_lo_u32 v2, v3, s15
	v_cmp_gt_u32_e32 vcc, s8, v3
	v_sub_u32_e32 v0, v0, v2
	v_mul_hi_u32 v2, v0, s0
	v_add_u32_e32 v2, v0, v2
	v_lshrrev_b32_e32 v4, s1, v2
	v_mul_lo_u32 v2, v4, s2
	s_waitcnt lgkmcnt(0)
	v_cmp_gt_u32_e64 s[0:1], s3, v4
	v_sub_u32_e32 v0, v0, v2
	v_cmp_gt_u32_e64 s[2:3], s2, v0
	s_and_b64 s[0:1], s[2:3], s[0:1]
	s_and_b64 s[0:1], s[0:1], vcc
	v_cmp_gt_u32_e32 vcc, s9, v1
	s_and_b64 s[0:1], vcc, s[0:1]
	s_and_saveexec_b64 s[2:3], s[0:1]
	s_cbranch_execz .LBB80_4
; %bb.1:
	s_load_dwordx2 s[6:7], s[4:5], 0x0
	s_load_dwordx4 s[0:3], s[4:5], 0xa8
	s_load_dwordx8 s[8:15], s[4:5], 0x88
	s_load_dwordx4 s[24:27], s[4:5], 0x78
	s_load_dwordx8 s[16:23], s[4:5], 0x58
	v_mov_b32_e32 v2, 0
	s_waitcnt lgkmcnt(0)
	s_cmp_eq_u64 s[6:7], 0
	v_mov_b32_e32 v5, 0
	s_cbranch_scc1 .LBB80_3
; %bb.2:
	v_mul_lo_u32 v5, v1, s14
	v_mul_lo_u32 v7, v3, s13
	;; [unrolled: 1-line block ×3, first 2 shown]
	v_mov_b32_e32 v6, 0
	v_mov_b32_e32 v9, s7
	v_add3_u32 v5, v7, v5, v8
	v_lshlrev_b64 v[7:8], 2, v[5:6]
	v_mul_lo_u32 v5, v0, s11
	v_add_co_u32_e32 v7, vcc, s6, v7
	v_addc_co_u32_e32 v8, vcc, v9, v8, vcc
	v_lshlrev_b64 v[5:6], 2, v[5:6]
	v_add_co_u32_e32 v5, vcc, v7, v5
	v_addc_co_u32_e32 v6, vcc, v8, v6, vcc
	global_load_dword v5, v[5:6], off
.LBB80_3:
	v_mul_hi_u32 v6, s19, v4
	v_mul_hi_u32 v7, s22, v3
	;; [unrolled: 1-line block ×4, first 2 shown]
	v_add_u32_e32 v6, v4, v6
	v_add_u32_e32 v7, v3, v7
	;; [unrolled: 1-line block ×3, first 2 shown]
	v_lshrrev_b32_e32 v6, s20, v6
	v_lshrrev_b32_e32 v7, s23, v7
	;; [unrolled: 1-line block ×3, first 2 shown]
	v_mul_lo_u32 v6, v6, s21
	v_mul_lo_u32 v7, v7, s24
	;; [unrolled: 1-line block ×3, first 2 shown]
	v_add_u32_e32 v9, v0, v9
	v_sub_u32_e32 v6, v4, v6
	v_sub_u32_e32 v7, v3, v7
	;; [unrolled: 1-line block ×3, first 2 shown]
	v_lshrrev_b32_e32 v9, s17, v9
	v_mul_lo_u32 v8, v8, s2
	v_mul_lo_u32 v7, v7, s1
	;; [unrolled: 1-line block ×5, first 2 shown]
	v_add3_u32 v6, v7, v8, v6
	v_sub_u32_e32 v8, v0, v9
	v_mul_lo_u32 v8, v8, s15
	s_load_dwordx2 s[6:7], s[4:5], 0xe8
	s_load_dwordx4 s[0:3], s[4:5], 0xd8
	s_load_dwordx8 s[12:19], s[4:5], 0xb8
	v_ashrrev_i32_e32 v7, 31, v6
	v_ashrrev_i32_e32 v9, 31, v8
	v_add_co_u32_e32 v6, vcc, v8, v6
	v_addc_co_u32_e32 v7, vcc, v9, v7, vcc
	v_lshlrev_b64 v[6:7], 2, v[6:7]
	s_waitcnt lgkmcnt(0)
	v_mov_b32_e32 v9, s13
	v_add_co_u32_e32 v8, vcc, s12, v6
	v_addc_co_u32_e32 v9, vcc, v9, v7, vcc
	global_load_dword v10, v[8:9], off
	v_mov_b32_e32 v9, s15
	v_add_co_u32_e32 v8, vcc, s14, v6
	v_addc_co_u32_e32 v9, vcc, v9, v7, vcc
	global_load_dword v11, v[8:9], off
	;; [unrolled: 4-line block ×7, first 2 shown]
	v_mul_lo_u32 v7, v1, s10
	v_mul_lo_u32 v9, v3, s9
	s_load_dwordx2 s[0:1], s[4:5], 0x10
	v_mov_b32_e32 v1, v2
	v_lshlrev_b64 v[3:4], 2, v[0:1]
	v_add3_u32 v1, v9, v7, v15
	v_lshlrev_b64 v[0:1], 2, v[1:2]
	s_waitcnt lgkmcnt(0)
	v_mov_b32_e32 v2, s1
	v_add_co_u32_e32 v0, vcc, s0, v0
	v_addc_co_u32_e32 v1, vcc, v2, v1, vcc
	v_add_co_u32_e32 v0, vcc, v0, v3
	v_addc_co_u32_e32 v1, vcc, v1, v4, vcc
	s_waitcnt vmcnt(6)
	v_add_f32_e32 v2, v5, v10
	s_waitcnt vmcnt(5)
	v_add_f32_e32 v2, v2, v11
	;; [unrolled: 2-line block ×7, first 2 shown]
	global_store_dword v[0:1], v2, off
.LBB80_4:
	s_endpgm
	.section	.rodata,"a",@progbits
	.p2align	6, 0x0
	.amdhsa_kernel _ZL19k_bin_bcast_unravelIXadL_ZL6op_addffEEfffJPKfS1_S1_S1_S1_S1_S1_EEvPKT0_PKT1_PT2_15HIP_vector_typeIjLj3EESB_SB_jSB_SB_SB_SB_SB_SB_iiiiiiiiiiiDpT3_
		.amdhsa_group_segment_fixed_size 0
		.amdhsa_private_segment_fixed_size 0
		.amdhsa_kernarg_size 496
		.amdhsa_user_sgpr_count 6
		.amdhsa_user_sgpr_private_segment_buffer 1
		.amdhsa_user_sgpr_dispatch_ptr 0
		.amdhsa_user_sgpr_queue_ptr 0
		.amdhsa_user_sgpr_kernarg_segment_ptr 1
		.amdhsa_user_sgpr_dispatch_id 0
		.amdhsa_user_sgpr_flat_scratch_init 0
		.amdhsa_user_sgpr_private_segment_size 0
		.amdhsa_uses_dynamic_stack 0
		.amdhsa_system_sgpr_private_segment_wavefront_offset 0
		.amdhsa_system_sgpr_workgroup_id_x 1
		.amdhsa_system_sgpr_workgroup_id_y 0
		.amdhsa_system_sgpr_workgroup_id_z 0
		.amdhsa_system_sgpr_workgroup_info 0
		.amdhsa_system_vgpr_workitem_id 0
		.amdhsa_next_free_vgpr 16
		.amdhsa_next_free_sgpr 28
		.amdhsa_reserve_vcc 1
		.amdhsa_reserve_flat_scratch 0
		.amdhsa_float_round_mode_32 0
		.amdhsa_float_round_mode_16_64 0
		.amdhsa_float_denorm_mode_32 3
		.amdhsa_float_denorm_mode_16_64 3
		.amdhsa_dx10_clamp 1
		.amdhsa_ieee_mode 1
		.amdhsa_fp16_overflow 0
		.amdhsa_exception_fp_ieee_invalid_op 0
		.amdhsa_exception_fp_denorm_src 0
		.amdhsa_exception_fp_ieee_div_zero 0
		.amdhsa_exception_fp_ieee_overflow 0
		.amdhsa_exception_fp_ieee_underflow 0
		.amdhsa_exception_fp_ieee_inexact 0
		.amdhsa_exception_int_div_zero 0
	.end_amdhsa_kernel
	.section	.text._ZL19k_bin_bcast_unravelIXadL_ZL6op_addffEEfffJPKfS1_S1_S1_S1_S1_S1_EEvPKT0_PKT1_PT2_15HIP_vector_typeIjLj3EESB_SB_jSB_SB_SB_SB_SB_SB_iiiiiiiiiiiDpT3_,"axG",@progbits,_ZL19k_bin_bcast_unravelIXadL_ZL6op_addffEEfffJPKfS1_S1_S1_S1_S1_S1_EEvPKT0_PKT1_PT2_15HIP_vector_typeIjLj3EESB_SB_jSB_SB_SB_SB_SB_SB_iiiiiiiiiiiDpT3_,comdat
.Lfunc_end80:
	.size	_ZL19k_bin_bcast_unravelIXadL_ZL6op_addffEEfffJPKfS1_S1_S1_S1_S1_S1_EEvPKT0_PKT1_PT2_15HIP_vector_typeIjLj3EESB_SB_jSB_SB_SB_SB_SB_SB_iiiiiiiiiiiDpT3_, .Lfunc_end80-_ZL19k_bin_bcast_unravelIXadL_ZL6op_addffEEfffJPKfS1_S1_S1_S1_S1_S1_EEvPKT0_PKT1_PT2_15HIP_vector_typeIjLj3EESB_SB_jSB_SB_SB_SB_SB_SB_iiiiiiiiiiiDpT3_
                                        ; -- End function
	.set _ZL19k_bin_bcast_unravelIXadL_ZL6op_addffEEfffJPKfS1_S1_S1_S1_S1_S1_EEvPKT0_PKT1_PT2_15HIP_vector_typeIjLj3EESB_SB_jSB_SB_SB_SB_SB_SB_iiiiiiiiiiiDpT3_.num_vgpr, 16
	.set _ZL19k_bin_bcast_unravelIXadL_ZL6op_addffEEfffJPKfS1_S1_S1_S1_S1_S1_EEvPKT0_PKT1_PT2_15HIP_vector_typeIjLj3EESB_SB_jSB_SB_SB_SB_SB_SB_iiiiiiiiiiiDpT3_.num_agpr, 0
	.set _ZL19k_bin_bcast_unravelIXadL_ZL6op_addffEEfffJPKfS1_S1_S1_S1_S1_S1_EEvPKT0_PKT1_PT2_15HIP_vector_typeIjLj3EESB_SB_jSB_SB_SB_SB_SB_SB_iiiiiiiiiiiDpT3_.numbered_sgpr, 28
	.set _ZL19k_bin_bcast_unravelIXadL_ZL6op_addffEEfffJPKfS1_S1_S1_S1_S1_S1_EEvPKT0_PKT1_PT2_15HIP_vector_typeIjLj3EESB_SB_jSB_SB_SB_SB_SB_SB_iiiiiiiiiiiDpT3_.num_named_barrier, 0
	.set _ZL19k_bin_bcast_unravelIXadL_ZL6op_addffEEfffJPKfS1_S1_S1_S1_S1_S1_EEvPKT0_PKT1_PT2_15HIP_vector_typeIjLj3EESB_SB_jSB_SB_SB_SB_SB_SB_iiiiiiiiiiiDpT3_.private_seg_size, 0
	.set _ZL19k_bin_bcast_unravelIXadL_ZL6op_addffEEfffJPKfS1_S1_S1_S1_S1_S1_EEvPKT0_PKT1_PT2_15HIP_vector_typeIjLj3EESB_SB_jSB_SB_SB_SB_SB_SB_iiiiiiiiiiiDpT3_.uses_vcc, 1
	.set _ZL19k_bin_bcast_unravelIXadL_ZL6op_addffEEfffJPKfS1_S1_S1_S1_S1_S1_EEvPKT0_PKT1_PT2_15HIP_vector_typeIjLj3EESB_SB_jSB_SB_SB_SB_SB_SB_iiiiiiiiiiiDpT3_.uses_flat_scratch, 0
	.set _ZL19k_bin_bcast_unravelIXadL_ZL6op_addffEEfffJPKfS1_S1_S1_S1_S1_S1_EEvPKT0_PKT1_PT2_15HIP_vector_typeIjLj3EESB_SB_jSB_SB_SB_SB_SB_SB_iiiiiiiiiiiDpT3_.has_dyn_sized_stack, 0
	.set _ZL19k_bin_bcast_unravelIXadL_ZL6op_addffEEfffJPKfS1_S1_S1_S1_S1_S1_EEvPKT0_PKT1_PT2_15HIP_vector_typeIjLj3EESB_SB_jSB_SB_SB_SB_SB_SB_iiiiiiiiiiiDpT3_.has_recursion, 0
	.set _ZL19k_bin_bcast_unravelIXadL_ZL6op_addffEEfffJPKfS1_S1_S1_S1_S1_S1_EEvPKT0_PKT1_PT2_15HIP_vector_typeIjLj3EESB_SB_jSB_SB_SB_SB_SB_SB_iiiiiiiiiiiDpT3_.has_indirect_call, 0
	.section	.AMDGPU.csdata,"",@progbits
; Kernel info:
; codeLenInByte = 832
; TotalNumSgprs: 32
; NumVgprs: 16
; ScratchSize: 0
; MemoryBound: 0
; FloatMode: 240
; IeeeMode: 1
; LDSByteSize: 0 bytes/workgroup (compile time only)
; SGPRBlocks: 3
; VGPRBlocks: 3
; NumSGPRsForWavesPerEU: 32
; NumVGPRsForWavesPerEU: 16
; Occupancy: 10
; WaveLimiterHint : 1
; COMPUTE_PGM_RSRC2:SCRATCH_EN: 0
; COMPUTE_PGM_RSRC2:USER_SGPR: 6
; COMPUTE_PGM_RSRC2:TRAP_HANDLER: 0
; COMPUTE_PGM_RSRC2:TGID_X_EN: 1
; COMPUTE_PGM_RSRC2:TGID_Y_EN: 0
; COMPUTE_PGM_RSRC2:TGID_Z_EN: 0
; COMPUTE_PGM_RSRC2:TIDIG_COMP_CNT: 0
	.section	.text._ZL11k_bin_bcastIXadL_ZL6op_addffEEfffJPKfS1_S1_S1_S1_S1_S1_EEvPKT0_PKT1_PT2_iii15HIP_vector_typeIjLj3EESB_SB_SB_SB_iiiiiiiiiiiDpT3_,"axG",@progbits,_ZL11k_bin_bcastIXadL_ZL6op_addffEEfffJPKfS1_S1_S1_S1_S1_S1_EEvPKT0_PKT1_PT2_iii15HIP_vector_typeIjLj3EESB_SB_SB_SB_iiiiiiiiiiiDpT3_,comdat
	.globl	_ZL11k_bin_bcastIXadL_ZL6op_addffEEfffJPKfS1_S1_S1_S1_S1_S1_EEvPKT0_PKT1_PT2_iii15HIP_vector_typeIjLj3EESB_SB_SB_SB_iiiiiiiiiiiDpT3_ ; -- Begin function _ZL11k_bin_bcastIXadL_ZL6op_addffEEfffJPKfS1_S1_S1_S1_S1_S1_EEvPKT0_PKT1_PT2_iii15HIP_vector_typeIjLj3EESB_SB_SB_SB_iiiiiiiiiiiDpT3_
	.p2align	8
	.type	_ZL11k_bin_bcastIXadL_ZL6op_addffEEfffJPKfS1_S1_S1_S1_S1_S1_EEvPKT0_PKT1_PT2_iii15HIP_vector_typeIjLj3EESB_SB_SB_SB_iiiiiiiiiiiDpT3_,@function
_ZL11k_bin_bcastIXadL_ZL6op_addffEEfffJPKfS1_S1_S1_S1_S1_S1_EEvPKT0_PKT1_PT2_iii15HIP_vector_typeIjLj3EESB_SB_SB_SB_iiiiiiiiiiiDpT3_: ; @_ZL11k_bin_bcastIXadL_ZL6op_addffEEfffJPKfS1_S1_S1_S1_S1_S1_EEvPKT0_PKT1_PT2_iii15HIP_vector_typeIjLj3EESB_SB_SB_SB_iiiiiiiiiiiDpT3_
; %bb.0:
	s_load_dwordx2 s[0:1], s[4:5], 0xd4
	s_load_dwordx8 s[12:19], s[4:5], 0x18
	s_add_u32 s2, s4, 0xc8
	s_addc_u32 s3, s5, 0
	s_waitcnt lgkmcnt(0)
	s_and_b32 s1, s1, 0xffff
	s_mul_i32 s8, s8, s1
	v_add_u32_e32 v3, s8, v2
	v_mul_hi_u32 v2, v3, s15
	s_lshr_b32 s1, s0, 16
	s_and_b32 s8, s0, 0xffff
	s_mul_i32 s6, s6, s8
	v_add_u32_e32 v2, v3, v2
	v_lshrrev_b32_e32 v2, s16, v2
	v_mul_lo_u32 v4, v2, s17
	s_mul_i32 s7, s7, s1
	v_add_u32_e32 v0, s6, v0
	v_add_u32_e32 v1, s7, v1
	v_cmp_gt_u32_e32 vcc, s12, v0
	v_cmp_gt_u32_e64 s[0:1], s13, v1
	v_sub_u32_e32 v3, v3, v4
	s_and_b64 s[0:1], vcc, s[0:1]
	v_cmp_gt_u32_e32 vcc, s14, v2
	s_and_b64 s[0:1], s[0:1], vcc
	v_cmp_gt_u32_e32 vcc, s17, v3
	s_and_b64 s[0:1], s[0:1], vcc
	s_and_saveexec_b64 s[6:7], s[0:1]
	s_cbranch_execz .LBB81_6
; %bb.1:
	v_cmp_gt_i32_e32 vcc, s12, v0
	s_and_b64 exec, exec, vcc
	s_cbranch_execz .LBB81_6
; %bb.2:
	s_load_dwordx8 s[36:43], s[4:5], 0x3c
	s_load_dwordx8 s[20:27], s[4:5], 0x60
	s_load_dwordx4 s[28:31], s[4:5], 0x80
	s_load_dword s6, s[2:3], 0x0
	s_load_dword s0, s[4:5], 0x5c
	s_waitcnt lgkmcnt(0)
	v_mul_hi_u32 v4, s36, v1
	v_mul_hi_u32 v5, s39, v2
	;; [unrolled: 1-line block ×3, first 2 shown]
	v_mul_lo_u32 v7, v3, s26
	v_add_u32_e32 v4, v1, v4
	v_add_u32_e32 v5, v2, v5
	;; [unrolled: 1-line block ×3, first 2 shown]
	v_lshrrev_b32_e32 v4, s37, v4
	v_lshrrev_b32_e32 v5, s40, v5
	;; [unrolled: 1-line block ×3, first 2 shown]
	v_mul_lo_u32 v4, v4, s38
	v_mul_lo_u32 v5, v5, s41
	;; [unrolled: 1-line block ×5, first 2 shown]
	v_sub_u32_e32 v4, v1, v4
	v_sub_u32_e32 v5, v2, v5
	;; [unrolled: 1-line block ×3, first 2 shown]
	s_load_dword s9, s[4:5], 0x38
	s_load_dwordx2 s[0:1], s[4:5], 0x0
	s_load_dwordx2 s[2:3], s[4:5], 0x10
	v_mul_lo_u32 v6, v6, s30
	v_mul_lo_u32 v5, v5, s29
	;; [unrolled: 1-line block ×6, first 2 shown]
	v_add3_u32 v1, v8, v9, v7
	v_mov_b32_e32 v2, 0
	v_mov_b32_e32 v8, v2
	v_lshlrev_b64 v[1:2], 2, v[1:2]
	v_add3_u32 v4, v5, v6, v4
	v_add3_u32 v7, v10, v11, v3
	s_waitcnt lgkmcnt(0)
	v_mov_b32_e32 v3, s1
	v_add_co_u32_e32 v5, vcc, s0, v1
	v_addc_co_u32_e32 v6, vcc, v3, v2, vcc
	v_lshlrev_b64 v[1:2], 2, v[7:8]
	s_load_dwordx8 s[36:43], s[4:5], 0xb0
	s_load_dwordx8 s[44:51], s[4:5], 0x90
	v_mov_b32_e32 v3, s3
	v_add_co_u32_e32 v7, vcc, s2, v1
	v_addc_co_u32_e32 v8, vcc, v3, v2, vcc
	s_cmp_lg_u64 s[0:1], 0
	v_mul_lo_u32 v2, s23, v0
	s_cselect_b64 s[0:1], -1, 0
	s_mul_i32 s6, s6, s8
	v_cndmask_b32_e64 v1, 0, 1, s[0:1]
	s_mov_b64 s[4:5], 0
	s_mul_i32 s7, s6, s23
	s_sub_i32 s8, 0, s9
	v_cmp_ne_u32_e64 s[0:1], 1, v1
	s_waitcnt lgkmcnt(0)
	v_mov_b32_e32 v9, s45
	v_mov_b32_e32 v10, s47
	;; [unrolled: 1-line block ×7, first 2 shown]
	s_branch .LBB81_4
.LBB81_3:                               ;   in Loop: Header=BB81_4 Depth=1
	v_mul_hi_u32 v1, s18, v0
	v_add_u32_e32 v2, s7, v2
	v_add_u32_e32 v1, v0, v1
	v_lshrrev_b32_e32 v1, s19, v1
	v_mad_u64_u32 v[16:17], s[2:3], s8, v1, v[0:1]
	v_mul_lo_u32 v1, v16, s27
	v_add_co_u32_e32 v16, vcc, v1, v4
	v_addc_co_u32_e64 v17, s[2:3], 0, 0, vcc
	v_lshlrev_b64 v[16:17], 2, v[16:17]
	v_ashrrev_i32_e32 v1, 31, v0
	v_add_co_u32_e32 v18, vcc, s44, v16
	v_addc_co_u32_e32 v19, vcc, v9, v17, vcc
	v_add_co_u32_e32 v20, vcc, s46, v16
	v_addc_co_u32_e32 v21, vcc, v10, v17, vcc
	v_add_co_u32_e32 v22, vcc, s48, v16
	v_addc_co_u32_e32 v23, vcc, v11, v17, vcc
	v_add_co_u32_e32 v24, vcc, s50, v16
	v_addc_co_u32_e32 v25, vcc, v12, v17, vcc
	v_add_co_u32_e32 v26, vcc, s36, v16
	v_addc_co_u32_e32 v27, vcc, v13, v17, vcc
	v_add_co_u32_e32 v28, vcc, s38, v16
	v_addc_co_u32_e32 v29, vcc, v14, v17, vcc
	v_add_co_u32_e32 v16, vcc, s40, v16
	v_addc_co_u32_e32 v17, vcc, v15, v17, vcc
	global_load_dword v30, v[18:19], off
	global_load_dword v31, v[20:21], off
	;; [unrolled: 1-line block ×3, first 2 shown]
                                        ; kill: killed $vgpr18 killed $vgpr19
                                        ; kill: killed $vgpr20 killed $vgpr21
                                        ; kill: killed $vgpr22 killed $vgpr23
	s_nop 0
	global_load_dword v18, v[24:25], off
	global_load_dword v19, v[26:27], off
	;; [unrolled: 1-line block ×4, first 2 shown]
	v_lshlrev_b64 v[16:17], 2, v[0:1]
	v_add_u32_e32 v0, s6, v0
	v_cmp_le_i32_e32 vcc, s12, v0
	v_add_co_u32_e64 v16, s[2:3], v7, v16
	v_addc_co_u32_e64 v17, s[2:3], v8, v17, s[2:3]
	s_or_b64 s[4:5], vcc, s[4:5]
	s_waitcnt vmcnt(6)
	v_add_f32_e32 v1, v3, v30
	s_waitcnt vmcnt(5)
	v_add_f32_e32 v1, v1, v31
	;; [unrolled: 2-line block ×7, first 2 shown]
	global_store_dword v[16:17], v1, off
	s_andn2_b64 exec, exec, s[4:5]
	s_cbranch_execz .LBB81_6
.LBB81_4:                               ; =>This Inner Loop Header: Depth=1
	s_and_b64 vcc, exec, s[0:1]
	v_mov_b32_e32 v3, 0
	s_cbranch_vccnz .LBB81_3
; %bb.5:                                ;   in Loop: Header=BB81_4 Depth=1
	v_ashrrev_i32_e32 v3, 31, v2
	v_lshlrev_b64 v[16:17], 2, v[2:3]
	v_add_co_u32_e32 v16, vcc, v5, v16
	v_addc_co_u32_e32 v17, vcc, v6, v17, vcc
	global_load_dword v3, v[16:17], off
	s_branch .LBB81_3
.LBB81_6:
	s_endpgm
	.section	.rodata,"a",@progbits
	.p2align	6, 0x0
	.amdhsa_kernel _ZL11k_bin_bcastIXadL_ZL6op_addffEEfffJPKfS1_S1_S1_S1_S1_S1_EEvPKT0_PKT1_PT2_iii15HIP_vector_typeIjLj3EESB_SB_SB_SB_iiiiiiiiiiiDpT3_
		.amdhsa_group_segment_fixed_size 0
		.amdhsa_private_segment_fixed_size 0
		.amdhsa_kernarg_size 456
		.amdhsa_user_sgpr_count 6
		.amdhsa_user_sgpr_private_segment_buffer 1
		.amdhsa_user_sgpr_dispatch_ptr 0
		.amdhsa_user_sgpr_queue_ptr 0
		.amdhsa_user_sgpr_kernarg_segment_ptr 1
		.amdhsa_user_sgpr_dispatch_id 0
		.amdhsa_user_sgpr_flat_scratch_init 0
		.amdhsa_user_sgpr_private_segment_size 0
		.amdhsa_uses_dynamic_stack 0
		.amdhsa_system_sgpr_private_segment_wavefront_offset 0
		.amdhsa_system_sgpr_workgroup_id_x 1
		.amdhsa_system_sgpr_workgroup_id_y 1
		.amdhsa_system_sgpr_workgroup_id_z 1
		.amdhsa_system_sgpr_workgroup_info 0
		.amdhsa_system_vgpr_workitem_id 2
		.amdhsa_next_free_vgpr 33
		.amdhsa_next_free_sgpr 52
		.amdhsa_reserve_vcc 1
		.amdhsa_reserve_flat_scratch 0
		.amdhsa_float_round_mode_32 0
		.amdhsa_float_round_mode_16_64 0
		.amdhsa_float_denorm_mode_32 3
		.amdhsa_float_denorm_mode_16_64 3
		.amdhsa_dx10_clamp 1
		.amdhsa_ieee_mode 1
		.amdhsa_fp16_overflow 0
		.amdhsa_exception_fp_ieee_invalid_op 0
		.amdhsa_exception_fp_denorm_src 0
		.amdhsa_exception_fp_ieee_div_zero 0
		.amdhsa_exception_fp_ieee_overflow 0
		.amdhsa_exception_fp_ieee_underflow 0
		.amdhsa_exception_fp_ieee_inexact 0
		.amdhsa_exception_int_div_zero 0
	.end_amdhsa_kernel
	.section	.text._ZL11k_bin_bcastIXadL_ZL6op_addffEEfffJPKfS1_S1_S1_S1_S1_S1_EEvPKT0_PKT1_PT2_iii15HIP_vector_typeIjLj3EESB_SB_SB_SB_iiiiiiiiiiiDpT3_,"axG",@progbits,_ZL11k_bin_bcastIXadL_ZL6op_addffEEfffJPKfS1_S1_S1_S1_S1_S1_EEvPKT0_PKT1_PT2_iii15HIP_vector_typeIjLj3EESB_SB_SB_SB_iiiiiiiiiiiDpT3_,comdat
.Lfunc_end81:
	.size	_ZL11k_bin_bcastIXadL_ZL6op_addffEEfffJPKfS1_S1_S1_S1_S1_S1_EEvPKT0_PKT1_PT2_iii15HIP_vector_typeIjLj3EESB_SB_SB_SB_iiiiiiiiiiiDpT3_, .Lfunc_end81-_ZL11k_bin_bcastIXadL_ZL6op_addffEEfffJPKfS1_S1_S1_S1_S1_S1_EEvPKT0_PKT1_PT2_iii15HIP_vector_typeIjLj3EESB_SB_SB_SB_iiiiiiiiiiiDpT3_
                                        ; -- End function
	.set _ZL11k_bin_bcastIXadL_ZL6op_addffEEfffJPKfS1_S1_S1_S1_S1_S1_EEvPKT0_PKT1_PT2_iii15HIP_vector_typeIjLj3EESB_SB_SB_SB_iiiiiiiiiiiDpT3_.num_vgpr, 33
	.set _ZL11k_bin_bcastIXadL_ZL6op_addffEEfffJPKfS1_S1_S1_S1_S1_S1_EEvPKT0_PKT1_PT2_iii15HIP_vector_typeIjLj3EESB_SB_SB_SB_iiiiiiiiiiiDpT3_.num_agpr, 0
	.set _ZL11k_bin_bcastIXadL_ZL6op_addffEEfffJPKfS1_S1_S1_S1_S1_S1_EEvPKT0_PKT1_PT2_iii15HIP_vector_typeIjLj3EESB_SB_SB_SB_iiiiiiiiiiiDpT3_.numbered_sgpr, 52
	.set _ZL11k_bin_bcastIXadL_ZL6op_addffEEfffJPKfS1_S1_S1_S1_S1_S1_EEvPKT0_PKT1_PT2_iii15HIP_vector_typeIjLj3EESB_SB_SB_SB_iiiiiiiiiiiDpT3_.num_named_barrier, 0
	.set _ZL11k_bin_bcastIXadL_ZL6op_addffEEfffJPKfS1_S1_S1_S1_S1_S1_EEvPKT0_PKT1_PT2_iii15HIP_vector_typeIjLj3EESB_SB_SB_SB_iiiiiiiiiiiDpT3_.private_seg_size, 0
	.set _ZL11k_bin_bcastIXadL_ZL6op_addffEEfffJPKfS1_S1_S1_S1_S1_S1_EEvPKT0_PKT1_PT2_iii15HIP_vector_typeIjLj3EESB_SB_SB_SB_iiiiiiiiiiiDpT3_.uses_vcc, 1
	.set _ZL11k_bin_bcastIXadL_ZL6op_addffEEfffJPKfS1_S1_S1_S1_S1_S1_EEvPKT0_PKT1_PT2_iii15HIP_vector_typeIjLj3EESB_SB_SB_SB_iiiiiiiiiiiDpT3_.uses_flat_scratch, 0
	.set _ZL11k_bin_bcastIXadL_ZL6op_addffEEfffJPKfS1_S1_S1_S1_S1_S1_EEvPKT0_PKT1_PT2_iii15HIP_vector_typeIjLj3EESB_SB_SB_SB_iiiiiiiiiiiDpT3_.has_dyn_sized_stack, 0
	.set _ZL11k_bin_bcastIXadL_ZL6op_addffEEfffJPKfS1_S1_S1_S1_S1_S1_EEvPKT0_PKT1_PT2_iii15HIP_vector_typeIjLj3EESB_SB_SB_SB_iiiiiiiiiiiDpT3_.has_recursion, 0
	.set _ZL11k_bin_bcastIXadL_ZL6op_addffEEfffJPKfS1_S1_S1_S1_S1_S1_EEvPKT0_PKT1_PT2_iii15HIP_vector_typeIjLj3EESB_SB_SB_SB_iiiiiiiiiiiDpT3_.has_indirect_call, 0
	.section	.AMDGPU.csdata,"",@progbits
; Kernel info:
; codeLenInByte = 888
; TotalNumSgprs: 56
; NumVgprs: 33
; ScratchSize: 0
; MemoryBound: 0
; FloatMode: 240
; IeeeMode: 1
; LDSByteSize: 0 bytes/workgroup (compile time only)
; SGPRBlocks: 6
; VGPRBlocks: 8
; NumSGPRsForWavesPerEU: 56
; NumVGPRsForWavesPerEU: 33
; Occupancy: 7
; WaveLimiterHint : 1
; COMPUTE_PGM_RSRC2:SCRATCH_EN: 0
; COMPUTE_PGM_RSRC2:USER_SGPR: 6
; COMPUTE_PGM_RSRC2:TRAP_HANDLER: 0
; COMPUTE_PGM_RSRC2:TGID_X_EN: 1
; COMPUTE_PGM_RSRC2:TGID_Y_EN: 1
; COMPUTE_PGM_RSRC2:TGID_Z_EN: 1
; COMPUTE_PGM_RSRC2:TIDIG_COMP_CNT: 2
	.section	.text._ZL19k_bin_bcast_unravelIXadL_ZL6op_addffEE6__halfS0_S0_JPKS0_S2_S2_S2_S2_S2_S2_EEvPKT0_PKT1_PT2_15HIP_vector_typeIjLj3EESC_SC_jSC_SC_SC_SC_SC_SC_iiiiiiiiiiiDpT3_,"axG",@progbits,_ZL19k_bin_bcast_unravelIXadL_ZL6op_addffEE6__halfS0_S0_JPKS0_S2_S2_S2_S2_S2_S2_EEvPKT0_PKT1_PT2_15HIP_vector_typeIjLj3EESC_SC_jSC_SC_SC_SC_SC_SC_iiiiiiiiiiiDpT3_,comdat
	.globl	_ZL19k_bin_bcast_unravelIXadL_ZL6op_addffEE6__halfS0_S0_JPKS0_S2_S2_S2_S2_S2_S2_EEvPKT0_PKT1_PT2_15HIP_vector_typeIjLj3EESC_SC_jSC_SC_SC_SC_SC_SC_iiiiiiiiiiiDpT3_ ; -- Begin function _ZL19k_bin_bcast_unravelIXadL_ZL6op_addffEE6__halfS0_S0_JPKS0_S2_S2_S2_S2_S2_S2_EEvPKT0_PKT1_PT2_15HIP_vector_typeIjLj3EESC_SC_jSC_SC_SC_SC_SC_SC_iiiiiiiiiiiDpT3_
	.p2align	8
	.type	_ZL19k_bin_bcast_unravelIXadL_ZL6op_addffEE6__halfS0_S0_JPKS0_S2_S2_S2_S2_S2_S2_EEvPKT0_PKT1_PT2_15HIP_vector_typeIjLj3EESC_SC_jSC_SC_SC_SC_SC_SC_iiiiiiiiiiiDpT3_,@function
_ZL19k_bin_bcast_unravelIXadL_ZL6op_addffEE6__halfS0_S0_JPKS0_S2_S2_S2_S2_S2_S2_EEvPKT0_PKT1_PT2_15HIP_vector_typeIjLj3EESC_SC_jSC_SC_SC_SC_SC_SC_iiiiiiiiiiiDpT3_: ; @_ZL19k_bin_bcast_unravelIXadL_ZL6op_addffEE6__halfS0_S0_JPKS0_S2_S2_S2_S2_S2_S2_EEvPKT0_PKT1_PT2_15HIP_vector_typeIjLj3EESC_SC_jSC_SC_SC_SC_SC_SC_iiiiiiiiiiiDpT3_
; %bb.0:
	s_load_dword s0, s[4:5], 0xfc
	s_load_dwordx8 s[8:15], s[4:5], 0x38
	s_waitcnt lgkmcnt(0)
	s_and_b32 s0, s0, 0xffff
	s_mul_i32 s6, s6, s0
	v_add_u32_e32 v0, s6, v0
	v_mul_hi_u32 v1, v0, s10
	s_load_dwordx4 s[0:3], s[4:5], 0x18
	s_waitcnt lgkmcnt(0)
	s_load_dword s3, s[4:5], 0x2c
	v_add_u32_e32 v1, v0, v1
	v_lshrrev_b32_e32 v1, s11, v1
	v_mul_lo_u32 v2, v1, s12
	v_sub_u32_e32 v0, v0, v2
	v_mul_hi_u32 v2, v0, s13
	v_add_u32_e32 v2, v0, v2
	v_lshrrev_b32_e32 v3, s14, v2
	v_mul_lo_u32 v2, v3, s15
	v_cmp_gt_u32_e32 vcc, s8, v3
	v_sub_u32_e32 v0, v0, v2
	v_mul_hi_u32 v2, v0, s0
	v_add_u32_e32 v2, v0, v2
	v_lshrrev_b32_e32 v4, s1, v2
	v_mul_lo_u32 v2, v4, s2
	s_waitcnt lgkmcnt(0)
	v_cmp_gt_u32_e64 s[0:1], s3, v4
	v_sub_u32_e32 v0, v0, v2
	v_cmp_gt_u32_e64 s[2:3], s2, v0
	s_and_b64 s[0:1], s[2:3], s[0:1]
	s_and_b64 s[0:1], s[0:1], vcc
	v_cmp_gt_u32_e32 vcc, s9, v1
	s_and_b64 s[0:1], vcc, s[0:1]
	s_and_saveexec_b64 s[2:3], s[0:1]
	s_cbranch_execz .LBB82_4
; %bb.1:
	s_load_dwordx2 s[6:7], s[4:5], 0x0
	s_load_dwordx4 s[0:3], s[4:5], 0xa8
	s_load_dwordx8 s[8:15], s[4:5], 0x88
	s_load_dwordx4 s[24:27], s[4:5], 0x78
	s_load_dwordx8 s[16:23], s[4:5], 0x58
	v_mov_b32_e32 v2, 0
	s_waitcnt lgkmcnt(0)
	s_cmp_eq_u64 s[6:7], 0
	v_mov_b32_e32 v5, 0
	s_cbranch_scc1 .LBB82_3
; %bb.2:
	v_mul_lo_u32 v5, v1, s14
	v_mul_lo_u32 v7, v3, s13
	;; [unrolled: 1-line block ×3, first 2 shown]
	v_mov_b32_e32 v6, 0
	v_mov_b32_e32 v9, s7
	v_add3_u32 v5, v7, v5, v8
	v_lshlrev_b64 v[7:8], 1, v[5:6]
	v_mul_lo_u32 v5, v0, s11
	v_add_co_u32_e32 v7, vcc, s6, v7
	v_addc_co_u32_e32 v8, vcc, v9, v8, vcc
	v_lshlrev_b64 v[5:6], 1, v[5:6]
	v_add_co_u32_e32 v5, vcc, v7, v5
	v_addc_co_u32_e32 v6, vcc, v8, v6, vcc
	global_load_ushort v5, v[5:6], off
	s_waitcnt vmcnt(0)
	v_cvt_f32_f16_e32 v5, v5
.LBB82_3:
	v_mul_hi_u32 v6, s19, v4
	v_mul_hi_u32 v7, s22, v3
	;; [unrolled: 1-line block ×4, first 2 shown]
	v_add_u32_e32 v6, v4, v6
	v_add_u32_e32 v7, v3, v7
	;; [unrolled: 1-line block ×3, first 2 shown]
	v_lshrrev_b32_e32 v6, s20, v6
	v_lshrrev_b32_e32 v7, s23, v7
	;; [unrolled: 1-line block ×3, first 2 shown]
	v_mul_lo_u32 v6, v6, s21
	v_mul_lo_u32 v7, v7, s24
	;; [unrolled: 1-line block ×3, first 2 shown]
	v_add_u32_e32 v9, v0, v9
	v_sub_u32_e32 v6, v4, v6
	v_sub_u32_e32 v7, v3, v7
	;; [unrolled: 1-line block ×3, first 2 shown]
	v_lshrrev_b32_e32 v9, s17, v9
	v_mul_lo_u32 v8, v8, s2
	v_mul_lo_u32 v7, v7, s1
	;; [unrolled: 1-line block ×5, first 2 shown]
	v_add3_u32 v6, v7, v8, v6
	v_sub_u32_e32 v8, v0, v9
	v_mul_lo_u32 v8, v8, s15
	s_load_dwordx2 s[6:7], s[4:5], 0xe8
	s_load_dwordx4 s[0:3], s[4:5], 0xd8
	s_load_dwordx8 s[12:19], s[4:5], 0xb8
	v_ashrrev_i32_e32 v7, 31, v6
	v_ashrrev_i32_e32 v9, 31, v8
	v_add_co_u32_e32 v6, vcc, v8, v6
	v_addc_co_u32_e32 v7, vcc, v9, v7, vcc
	v_lshlrev_b64 v[6:7], 1, v[6:7]
	s_waitcnt lgkmcnt(0)
	v_mov_b32_e32 v9, s13
	v_add_co_u32_e32 v8, vcc, s12, v6
	v_addc_co_u32_e32 v9, vcc, v9, v7, vcc
	global_load_ushort v10, v[8:9], off
	v_mov_b32_e32 v9, s15
	v_add_co_u32_e32 v8, vcc, s14, v6
	v_addc_co_u32_e32 v9, vcc, v9, v7, vcc
	global_load_ushort v11, v[8:9], off
	;; [unrolled: 4-line block ×7, first 2 shown]
	v_mul_lo_u32 v7, v1, s10
	v_mul_lo_u32 v9, v3, s9
	s_load_dwordx2 s[0:1], s[4:5], 0x10
	v_mov_b32_e32 v1, v2
	v_lshlrev_b64 v[3:4], 1, v[0:1]
	v_add3_u32 v1, v9, v7, v15
	v_lshlrev_b64 v[0:1], 1, v[1:2]
	s_waitcnt lgkmcnt(0)
	v_mov_b32_e32 v2, s1
	v_add_co_u32_e32 v0, vcc, s0, v0
	v_addc_co_u32_e32 v1, vcc, v2, v1, vcc
	v_add_co_u32_e32 v0, vcc, v0, v3
	v_addc_co_u32_e32 v1, vcc, v1, v4, vcc
	s_waitcnt vmcnt(6)
	v_cvt_f32_f16_e32 v2, v10
	v_add_f32_e32 v2, v5, v2
	s_waitcnt vmcnt(5)
	v_cvt_f32_f16_e32 v7, v11
	v_add_f32_e32 v2, v2, v7
	;; [unrolled: 3-line block ×7, first 2 shown]
	v_cvt_f16_f32_e32 v2, v2
	global_store_short v[0:1], v2, off
.LBB82_4:
	s_endpgm
	.section	.rodata,"a",@progbits
	.p2align	6, 0x0
	.amdhsa_kernel _ZL19k_bin_bcast_unravelIXadL_ZL6op_addffEE6__halfS0_S0_JPKS0_S2_S2_S2_S2_S2_S2_EEvPKT0_PKT1_PT2_15HIP_vector_typeIjLj3EESC_SC_jSC_SC_SC_SC_SC_SC_iiiiiiiiiiiDpT3_
		.amdhsa_group_segment_fixed_size 0
		.amdhsa_private_segment_fixed_size 0
		.amdhsa_kernarg_size 496
		.amdhsa_user_sgpr_count 6
		.amdhsa_user_sgpr_private_segment_buffer 1
		.amdhsa_user_sgpr_dispatch_ptr 0
		.amdhsa_user_sgpr_queue_ptr 0
		.amdhsa_user_sgpr_kernarg_segment_ptr 1
		.amdhsa_user_sgpr_dispatch_id 0
		.amdhsa_user_sgpr_flat_scratch_init 0
		.amdhsa_user_sgpr_private_segment_size 0
		.amdhsa_uses_dynamic_stack 0
		.amdhsa_system_sgpr_private_segment_wavefront_offset 0
		.amdhsa_system_sgpr_workgroup_id_x 1
		.amdhsa_system_sgpr_workgroup_id_y 0
		.amdhsa_system_sgpr_workgroup_id_z 0
		.amdhsa_system_sgpr_workgroup_info 0
		.amdhsa_system_vgpr_workitem_id 0
		.amdhsa_next_free_vgpr 16
		.amdhsa_next_free_sgpr 28
		.amdhsa_reserve_vcc 1
		.amdhsa_reserve_flat_scratch 0
		.amdhsa_float_round_mode_32 0
		.amdhsa_float_round_mode_16_64 0
		.amdhsa_float_denorm_mode_32 3
		.amdhsa_float_denorm_mode_16_64 3
		.amdhsa_dx10_clamp 1
		.amdhsa_ieee_mode 1
		.amdhsa_fp16_overflow 0
		.amdhsa_exception_fp_ieee_invalid_op 0
		.amdhsa_exception_fp_denorm_src 0
		.amdhsa_exception_fp_ieee_div_zero 0
		.amdhsa_exception_fp_ieee_overflow 0
		.amdhsa_exception_fp_ieee_underflow 0
		.amdhsa_exception_fp_ieee_inexact 0
		.amdhsa_exception_int_div_zero 0
	.end_amdhsa_kernel
	.section	.text._ZL19k_bin_bcast_unravelIXadL_ZL6op_addffEE6__halfS0_S0_JPKS0_S2_S2_S2_S2_S2_S2_EEvPKT0_PKT1_PT2_15HIP_vector_typeIjLj3EESC_SC_jSC_SC_SC_SC_SC_SC_iiiiiiiiiiiDpT3_,"axG",@progbits,_ZL19k_bin_bcast_unravelIXadL_ZL6op_addffEE6__halfS0_S0_JPKS0_S2_S2_S2_S2_S2_S2_EEvPKT0_PKT1_PT2_15HIP_vector_typeIjLj3EESC_SC_jSC_SC_SC_SC_SC_SC_iiiiiiiiiiiDpT3_,comdat
.Lfunc_end82:
	.size	_ZL19k_bin_bcast_unravelIXadL_ZL6op_addffEE6__halfS0_S0_JPKS0_S2_S2_S2_S2_S2_S2_EEvPKT0_PKT1_PT2_15HIP_vector_typeIjLj3EESC_SC_jSC_SC_SC_SC_SC_SC_iiiiiiiiiiiDpT3_, .Lfunc_end82-_ZL19k_bin_bcast_unravelIXadL_ZL6op_addffEE6__halfS0_S0_JPKS0_S2_S2_S2_S2_S2_S2_EEvPKT0_PKT1_PT2_15HIP_vector_typeIjLj3EESC_SC_jSC_SC_SC_SC_SC_SC_iiiiiiiiiiiDpT3_
                                        ; -- End function
	.set _ZL19k_bin_bcast_unravelIXadL_ZL6op_addffEE6__halfS0_S0_JPKS0_S2_S2_S2_S2_S2_S2_EEvPKT0_PKT1_PT2_15HIP_vector_typeIjLj3EESC_SC_jSC_SC_SC_SC_SC_SC_iiiiiiiiiiiDpT3_.num_vgpr, 16
	.set _ZL19k_bin_bcast_unravelIXadL_ZL6op_addffEE6__halfS0_S0_JPKS0_S2_S2_S2_S2_S2_S2_EEvPKT0_PKT1_PT2_15HIP_vector_typeIjLj3EESC_SC_jSC_SC_SC_SC_SC_SC_iiiiiiiiiiiDpT3_.num_agpr, 0
	.set _ZL19k_bin_bcast_unravelIXadL_ZL6op_addffEE6__halfS0_S0_JPKS0_S2_S2_S2_S2_S2_S2_EEvPKT0_PKT1_PT2_15HIP_vector_typeIjLj3EESC_SC_jSC_SC_SC_SC_SC_SC_iiiiiiiiiiiDpT3_.numbered_sgpr, 28
	.set _ZL19k_bin_bcast_unravelIXadL_ZL6op_addffEE6__halfS0_S0_JPKS0_S2_S2_S2_S2_S2_S2_EEvPKT0_PKT1_PT2_15HIP_vector_typeIjLj3EESC_SC_jSC_SC_SC_SC_SC_SC_iiiiiiiiiiiDpT3_.num_named_barrier, 0
	.set _ZL19k_bin_bcast_unravelIXadL_ZL6op_addffEE6__halfS0_S0_JPKS0_S2_S2_S2_S2_S2_S2_EEvPKT0_PKT1_PT2_15HIP_vector_typeIjLj3EESC_SC_jSC_SC_SC_SC_SC_SC_iiiiiiiiiiiDpT3_.private_seg_size, 0
	.set _ZL19k_bin_bcast_unravelIXadL_ZL6op_addffEE6__halfS0_S0_JPKS0_S2_S2_S2_S2_S2_S2_EEvPKT0_PKT1_PT2_15HIP_vector_typeIjLj3EESC_SC_jSC_SC_SC_SC_SC_SC_iiiiiiiiiiiDpT3_.uses_vcc, 1
	.set _ZL19k_bin_bcast_unravelIXadL_ZL6op_addffEE6__halfS0_S0_JPKS0_S2_S2_S2_S2_S2_S2_EEvPKT0_PKT1_PT2_15HIP_vector_typeIjLj3EESC_SC_jSC_SC_SC_SC_SC_SC_iiiiiiiiiiiDpT3_.uses_flat_scratch, 0
	.set _ZL19k_bin_bcast_unravelIXadL_ZL6op_addffEE6__halfS0_S0_JPKS0_S2_S2_S2_S2_S2_S2_EEvPKT0_PKT1_PT2_15HIP_vector_typeIjLj3EESC_SC_jSC_SC_SC_SC_SC_SC_iiiiiiiiiiiDpT3_.has_dyn_sized_stack, 0
	.set _ZL19k_bin_bcast_unravelIXadL_ZL6op_addffEE6__halfS0_S0_JPKS0_S2_S2_S2_S2_S2_S2_EEvPKT0_PKT1_PT2_15HIP_vector_typeIjLj3EESC_SC_jSC_SC_SC_SC_SC_SC_iiiiiiiiiiiDpT3_.has_recursion, 0
	.set _ZL19k_bin_bcast_unravelIXadL_ZL6op_addffEE6__halfS0_S0_JPKS0_S2_S2_S2_S2_S2_S2_EEvPKT0_PKT1_PT2_15HIP_vector_typeIjLj3EESC_SC_jSC_SC_SC_SC_SC_SC_iiiiiiiiiiiDpT3_.has_indirect_call, 0
	.section	.AMDGPU.csdata,"",@progbits
; Kernel info:
; codeLenInByte = 872
; TotalNumSgprs: 32
; NumVgprs: 16
; ScratchSize: 0
; MemoryBound: 0
; FloatMode: 240
; IeeeMode: 1
; LDSByteSize: 0 bytes/workgroup (compile time only)
; SGPRBlocks: 3
; VGPRBlocks: 3
; NumSGPRsForWavesPerEU: 32
; NumVGPRsForWavesPerEU: 16
; Occupancy: 10
; WaveLimiterHint : 1
; COMPUTE_PGM_RSRC2:SCRATCH_EN: 0
; COMPUTE_PGM_RSRC2:USER_SGPR: 6
; COMPUTE_PGM_RSRC2:TRAP_HANDLER: 0
; COMPUTE_PGM_RSRC2:TGID_X_EN: 1
; COMPUTE_PGM_RSRC2:TGID_Y_EN: 0
; COMPUTE_PGM_RSRC2:TGID_Z_EN: 0
; COMPUTE_PGM_RSRC2:TIDIG_COMP_CNT: 0
	.section	.text._ZL11k_bin_bcastIXadL_ZL6op_addffEE6__halfS0_S0_JPKS0_S2_S2_S2_S2_S2_S2_EEvPKT0_PKT1_PT2_iii15HIP_vector_typeIjLj3EESC_SC_SC_SC_iiiiiiiiiiiDpT3_,"axG",@progbits,_ZL11k_bin_bcastIXadL_ZL6op_addffEE6__halfS0_S0_JPKS0_S2_S2_S2_S2_S2_S2_EEvPKT0_PKT1_PT2_iii15HIP_vector_typeIjLj3EESC_SC_SC_SC_iiiiiiiiiiiDpT3_,comdat
	.globl	_ZL11k_bin_bcastIXadL_ZL6op_addffEE6__halfS0_S0_JPKS0_S2_S2_S2_S2_S2_S2_EEvPKT0_PKT1_PT2_iii15HIP_vector_typeIjLj3EESC_SC_SC_SC_iiiiiiiiiiiDpT3_ ; -- Begin function _ZL11k_bin_bcastIXadL_ZL6op_addffEE6__halfS0_S0_JPKS0_S2_S2_S2_S2_S2_S2_EEvPKT0_PKT1_PT2_iii15HIP_vector_typeIjLj3EESC_SC_SC_SC_iiiiiiiiiiiDpT3_
	.p2align	8
	.type	_ZL11k_bin_bcastIXadL_ZL6op_addffEE6__halfS0_S0_JPKS0_S2_S2_S2_S2_S2_S2_EEvPKT0_PKT1_PT2_iii15HIP_vector_typeIjLj3EESC_SC_SC_SC_iiiiiiiiiiiDpT3_,@function
_ZL11k_bin_bcastIXadL_ZL6op_addffEE6__halfS0_S0_JPKS0_S2_S2_S2_S2_S2_S2_EEvPKT0_PKT1_PT2_iii15HIP_vector_typeIjLj3EESC_SC_SC_SC_iiiiiiiiiiiDpT3_: ; @_ZL11k_bin_bcastIXadL_ZL6op_addffEE6__halfS0_S0_JPKS0_S2_S2_S2_S2_S2_S2_EEvPKT0_PKT1_PT2_iii15HIP_vector_typeIjLj3EESC_SC_SC_SC_iiiiiiiiiiiDpT3_
; %bb.0:
	s_load_dwordx2 s[0:1], s[4:5], 0xd4
	s_load_dwordx8 s[12:19], s[4:5], 0x18
	s_add_u32 s2, s4, 0xc8
	s_addc_u32 s3, s5, 0
	s_waitcnt lgkmcnt(0)
	s_and_b32 s1, s1, 0xffff
	s_mul_i32 s8, s8, s1
	v_add_u32_e32 v3, s8, v2
	v_mul_hi_u32 v2, v3, s15
	s_lshr_b32 s1, s0, 16
	s_and_b32 s8, s0, 0xffff
	s_mul_i32 s6, s6, s8
	v_add_u32_e32 v2, v3, v2
	v_lshrrev_b32_e32 v2, s16, v2
	v_mul_lo_u32 v4, v2, s17
	s_mul_i32 s7, s7, s1
	v_add_u32_e32 v0, s6, v0
	v_add_u32_e32 v1, s7, v1
	v_cmp_gt_u32_e32 vcc, s12, v0
	v_cmp_gt_u32_e64 s[0:1], s13, v1
	v_sub_u32_e32 v3, v3, v4
	s_and_b64 s[0:1], vcc, s[0:1]
	v_cmp_gt_u32_e32 vcc, s14, v2
	s_and_b64 s[0:1], s[0:1], vcc
	v_cmp_gt_u32_e32 vcc, s17, v3
	s_and_b64 s[0:1], s[0:1], vcc
	s_and_saveexec_b64 s[6:7], s[0:1]
	s_cbranch_execz .LBB83_6
; %bb.1:
	v_cmp_gt_i32_e32 vcc, s12, v0
	s_and_b64 exec, exec, vcc
	s_cbranch_execz .LBB83_6
; %bb.2:
	s_load_dwordx8 s[36:43], s[4:5], 0x3c
	s_load_dwordx8 s[20:27], s[4:5], 0x60
	s_load_dwordx4 s[28:31], s[4:5], 0x80
	s_load_dword s6, s[2:3], 0x0
	s_load_dword s0, s[4:5], 0x5c
	s_waitcnt lgkmcnt(0)
	v_mul_hi_u32 v4, s36, v1
	v_mul_hi_u32 v5, s39, v2
	;; [unrolled: 1-line block ×3, first 2 shown]
	v_mul_lo_u32 v7, v3, s26
	v_add_u32_e32 v4, v1, v4
	v_add_u32_e32 v5, v2, v5
	;; [unrolled: 1-line block ×3, first 2 shown]
	v_lshrrev_b32_e32 v4, s37, v4
	v_lshrrev_b32_e32 v5, s40, v5
	;; [unrolled: 1-line block ×3, first 2 shown]
	v_mul_lo_u32 v4, v4, s38
	v_mul_lo_u32 v5, v5, s41
	;; [unrolled: 1-line block ×5, first 2 shown]
	v_sub_u32_e32 v4, v1, v4
	v_sub_u32_e32 v5, v2, v5
	;; [unrolled: 1-line block ×3, first 2 shown]
	s_load_dword s9, s[4:5], 0x38
	s_load_dwordx2 s[0:1], s[4:5], 0x0
	s_load_dwordx2 s[2:3], s[4:5], 0x10
	v_mul_lo_u32 v6, v6, s30
	v_mul_lo_u32 v5, v5, s29
	;; [unrolled: 1-line block ×6, first 2 shown]
	v_add3_u32 v1, v8, v9, v7
	v_mov_b32_e32 v2, 0
	v_mov_b32_e32 v8, v2
	v_lshlrev_b64 v[1:2], 1, v[1:2]
	v_add3_u32 v4, v5, v6, v4
	v_add3_u32 v7, v10, v11, v3
	s_waitcnt lgkmcnt(0)
	v_mov_b32_e32 v3, s1
	v_add_co_u32_e32 v5, vcc, s0, v1
	v_addc_co_u32_e32 v6, vcc, v3, v2, vcc
	v_lshlrev_b64 v[1:2], 1, v[7:8]
	s_load_dwordx8 s[36:43], s[4:5], 0xb0
	s_load_dwordx8 s[44:51], s[4:5], 0x90
	v_mov_b32_e32 v3, s3
	v_add_co_u32_e32 v7, vcc, s2, v1
	v_addc_co_u32_e32 v8, vcc, v3, v2, vcc
	s_cmp_lg_u64 s[0:1], 0
	v_mul_lo_u32 v2, s23, v0
	s_cselect_b64 s[0:1], -1, 0
	s_mul_i32 s6, s6, s8
	v_cndmask_b32_e64 v1, 0, 1, s[0:1]
	s_mov_b64 s[4:5], 0
	s_mul_i32 s7, s6, s23
	s_sub_i32 s8, 0, s9
	v_cmp_ne_u32_e64 s[0:1], 1, v1
	s_waitcnt lgkmcnt(0)
	v_mov_b32_e32 v9, s45
	v_mov_b32_e32 v10, s47
	;; [unrolled: 1-line block ×7, first 2 shown]
	s_branch .LBB83_4
.LBB83_3:                               ;   in Loop: Header=BB83_4 Depth=1
	v_mul_hi_u32 v1, s18, v0
	v_add_u32_e32 v2, s7, v2
	v_add_u32_e32 v1, v0, v1
	v_lshrrev_b32_e32 v1, s19, v1
	v_mad_u64_u32 v[16:17], s[2:3], s8, v1, v[0:1]
	v_mul_lo_u32 v1, v16, s27
	v_add_co_u32_e32 v16, vcc, v1, v4
	v_addc_co_u32_e64 v17, s[2:3], 0, 0, vcc
	v_lshlrev_b64 v[16:17], 1, v[16:17]
	v_ashrrev_i32_e32 v1, 31, v0
	v_add_co_u32_e32 v18, vcc, s44, v16
	v_addc_co_u32_e32 v19, vcc, v9, v17, vcc
	v_add_co_u32_e32 v20, vcc, s46, v16
	v_addc_co_u32_e32 v21, vcc, v10, v17, vcc
	;; [unrolled: 2-line block ×7, first 2 shown]
	global_load_ushort v30, v[18:19], off
	global_load_ushort v31, v[20:21], off
	;; [unrolled: 1-line block ×3, first 2 shown]
                                        ; kill: killed $vgpr22 killed $vgpr23
                                        ; kill: killed $vgpr20 killed $vgpr21
                                        ; kill: killed $vgpr18 killed $vgpr19
	s_nop 0
	global_load_ushort v18, v[24:25], off
	global_load_ushort v19, v[26:27], off
	;; [unrolled: 1-line block ×4, first 2 shown]
	v_lshlrev_b64 v[16:17], 1, v[0:1]
	v_add_u32_e32 v0, s6, v0
	v_cmp_le_i32_e32 vcc, s12, v0
	v_add_co_u32_e64 v16, s[2:3], v7, v16
	v_addc_co_u32_e64 v17, s[2:3], v8, v17, s[2:3]
	s_or_b64 s[4:5], vcc, s[4:5]
	s_waitcnt vmcnt(6)
	v_cvt_f32_f16_e32 v1, v30
	s_waitcnt vmcnt(5)
	v_cvt_f32_f16_e32 v22, v31
	;; [unrolled: 2-line block ×3, first 2 shown]
	v_add_f32_e32 v1, v3, v1
	v_add_f32_e32 v1, v1, v22
	s_waitcnt vmcnt(3)
	v_cvt_f32_f16_e32 v18, v18
	s_waitcnt vmcnt(2)
	v_cvt_f32_f16_e32 v19, v19
	s_waitcnt vmcnt(1)
	v_cvt_f32_f16_e32 v20, v20
	s_waitcnt vmcnt(0)
	v_cvt_f32_f16_e32 v21, v21
	v_add_f32_e32 v1, v1, v23
	v_add_f32_e32 v1, v1, v18
	;; [unrolled: 1-line block ×5, first 2 shown]
	v_cvt_f16_f32_e32 v1, v1
	global_store_short v[16:17], v1, off
	s_andn2_b64 exec, exec, s[4:5]
	s_cbranch_execz .LBB83_6
.LBB83_4:                               ; =>This Inner Loop Header: Depth=1
	s_and_b64 vcc, exec, s[0:1]
	v_mov_b32_e32 v3, 0
	s_cbranch_vccnz .LBB83_3
; %bb.5:                                ;   in Loop: Header=BB83_4 Depth=1
	v_ashrrev_i32_e32 v3, 31, v2
	v_lshlrev_b64 v[16:17], 1, v[2:3]
	v_add_co_u32_e32 v16, vcc, v5, v16
	v_addc_co_u32_e32 v17, vcc, v6, v17, vcc
	global_load_ushort v1, v[16:17], off
	s_waitcnt vmcnt(0)
	v_cvt_f32_f16_e32 v3, v1
	s_branch .LBB83_3
.LBB83_6:
	s_endpgm
	.section	.rodata,"a",@progbits
	.p2align	6, 0x0
	.amdhsa_kernel _ZL11k_bin_bcastIXadL_ZL6op_addffEE6__halfS0_S0_JPKS0_S2_S2_S2_S2_S2_S2_EEvPKT0_PKT1_PT2_iii15HIP_vector_typeIjLj3EESC_SC_SC_SC_iiiiiiiiiiiDpT3_
		.amdhsa_group_segment_fixed_size 0
		.amdhsa_private_segment_fixed_size 0
		.amdhsa_kernarg_size 456
		.amdhsa_user_sgpr_count 6
		.amdhsa_user_sgpr_private_segment_buffer 1
		.amdhsa_user_sgpr_dispatch_ptr 0
		.amdhsa_user_sgpr_queue_ptr 0
		.amdhsa_user_sgpr_kernarg_segment_ptr 1
		.amdhsa_user_sgpr_dispatch_id 0
		.amdhsa_user_sgpr_flat_scratch_init 0
		.amdhsa_user_sgpr_private_segment_size 0
		.amdhsa_uses_dynamic_stack 0
		.amdhsa_system_sgpr_private_segment_wavefront_offset 0
		.amdhsa_system_sgpr_workgroup_id_x 1
		.amdhsa_system_sgpr_workgroup_id_y 1
		.amdhsa_system_sgpr_workgroup_id_z 1
		.amdhsa_system_sgpr_workgroup_info 0
		.amdhsa_system_vgpr_workitem_id 2
		.amdhsa_next_free_vgpr 33
		.amdhsa_next_free_sgpr 52
		.amdhsa_reserve_vcc 1
		.amdhsa_reserve_flat_scratch 0
		.amdhsa_float_round_mode_32 0
		.amdhsa_float_round_mode_16_64 0
		.amdhsa_float_denorm_mode_32 3
		.amdhsa_float_denorm_mode_16_64 3
		.amdhsa_dx10_clamp 1
		.amdhsa_ieee_mode 1
		.amdhsa_fp16_overflow 0
		.amdhsa_exception_fp_ieee_invalid_op 0
		.amdhsa_exception_fp_denorm_src 0
		.amdhsa_exception_fp_ieee_div_zero 0
		.amdhsa_exception_fp_ieee_overflow 0
		.amdhsa_exception_fp_ieee_underflow 0
		.amdhsa_exception_fp_ieee_inexact 0
		.amdhsa_exception_int_div_zero 0
	.end_amdhsa_kernel
	.section	.text._ZL11k_bin_bcastIXadL_ZL6op_addffEE6__halfS0_S0_JPKS0_S2_S2_S2_S2_S2_S2_EEvPKT0_PKT1_PT2_iii15HIP_vector_typeIjLj3EESC_SC_SC_SC_iiiiiiiiiiiDpT3_,"axG",@progbits,_ZL11k_bin_bcastIXadL_ZL6op_addffEE6__halfS0_S0_JPKS0_S2_S2_S2_S2_S2_S2_EEvPKT0_PKT1_PT2_iii15HIP_vector_typeIjLj3EESC_SC_SC_SC_iiiiiiiiiiiDpT3_,comdat
.Lfunc_end83:
	.size	_ZL11k_bin_bcastIXadL_ZL6op_addffEE6__halfS0_S0_JPKS0_S2_S2_S2_S2_S2_S2_EEvPKT0_PKT1_PT2_iii15HIP_vector_typeIjLj3EESC_SC_SC_SC_iiiiiiiiiiiDpT3_, .Lfunc_end83-_ZL11k_bin_bcastIXadL_ZL6op_addffEE6__halfS0_S0_JPKS0_S2_S2_S2_S2_S2_S2_EEvPKT0_PKT1_PT2_iii15HIP_vector_typeIjLj3EESC_SC_SC_SC_iiiiiiiiiiiDpT3_
                                        ; -- End function
	.set _ZL11k_bin_bcastIXadL_ZL6op_addffEE6__halfS0_S0_JPKS0_S2_S2_S2_S2_S2_S2_EEvPKT0_PKT1_PT2_iii15HIP_vector_typeIjLj3EESC_SC_SC_SC_iiiiiiiiiiiDpT3_.num_vgpr, 33
	.set _ZL11k_bin_bcastIXadL_ZL6op_addffEE6__halfS0_S0_JPKS0_S2_S2_S2_S2_S2_S2_EEvPKT0_PKT1_PT2_iii15HIP_vector_typeIjLj3EESC_SC_SC_SC_iiiiiiiiiiiDpT3_.num_agpr, 0
	.set _ZL11k_bin_bcastIXadL_ZL6op_addffEE6__halfS0_S0_JPKS0_S2_S2_S2_S2_S2_S2_EEvPKT0_PKT1_PT2_iii15HIP_vector_typeIjLj3EESC_SC_SC_SC_iiiiiiiiiiiDpT3_.numbered_sgpr, 52
	.set _ZL11k_bin_bcastIXadL_ZL6op_addffEE6__halfS0_S0_JPKS0_S2_S2_S2_S2_S2_S2_EEvPKT0_PKT1_PT2_iii15HIP_vector_typeIjLj3EESC_SC_SC_SC_iiiiiiiiiiiDpT3_.num_named_barrier, 0
	.set _ZL11k_bin_bcastIXadL_ZL6op_addffEE6__halfS0_S0_JPKS0_S2_S2_S2_S2_S2_S2_EEvPKT0_PKT1_PT2_iii15HIP_vector_typeIjLj3EESC_SC_SC_SC_iiiiiiiiiiiDpT3_.private_seg_size, 0
	.set _ZL11k_bin_bcastIXadL_ZL6op_addffEE6__halfS0_S0_JPKS0_S2_S2_S2_S2_S2_S2_EEvPKT0_PKT1_PT2_iii15HIP_vector_typeIjLj3EESC_SC_SC_SC_iiiiiiiiiiiDpT3_.uses_vcc, 1
	.set _ZL11k_bin_bcastIXadL_ZL6op_addffEE6__halfS0_S0_JPKS0_S2_S2_S2_S2_S2_S2_EEvPKT0_PKT1_PT2_iii15HIP_vector_typeIjLj3EESC_SC_SC_SC_iiiiiiiiiiiDpT3_.uses_flat_scratch, 0
	.set _ZL11k_bin_bcastIXadL_ZL6op_addffEE6__halfS0_S0_JPKS0_S2_S2_S2_S2_S2_S2_EEvPKT0_PKT1_PT2_iii15HIP_vector_typeIjLj3EESC_SC_SC_SC_iiiiiiiiiiiDpT3_.has_dyn_sized_stack, 0
	.set _ZL11k_bin_bcastIXadL_ZL6op_addffEE6__halfS0_S0_JPKS0_S2_S2_S2_S2_S2_S2_EEvPKT0_PKT1_PT2_iii15HIP_vector_typeIjLj3EESC_SC_SC_SC_iiiiiiiiiiiDpT3_.has_recursion, 0
	.set _ZL11k_bin_bcastIXadL_ZL6op_addffEE6__halfS0_S0_JPKS0_S2_S2_S2_S2_S2_S2_EEvPKT0_PKT1_PT2_iii15HIP_vector_typeIjLj3EESC_SC_SC_SC_iiiiiiiiiiiDpT3_.has_indirect_call, 0
	.section	.AMDGPU.csdata,"",@progbits
; Kernel info:
; codeLenInByte = 928
; TotalNumSgprs: 56
; NumVgprs: 33
; ScratchSize: 0
; MemoryBound: 0
; FloatMode: 240
; IeeeMode: 1
; LDSByteSize: 0 bytes/workgroup (compile time only)
; SGPRBlocks: 6
; VGPRBlocks: 8
; NumSGPRsForWavesPerEU: 56
; NumVGPRsForWavesPerEU: 33
; Occupancy: 7
; WaveLimiterHint : 1
; COMPUTE_PGM_RSRC2:SCRATCH_EN: 0
; COMPUTE_PGM_RSRC2:USER_SGPR: 6
; COMPUTE_PGM_RSRC2:TRAP_HANDLER: 0
; COMPUTE_PGM_RSRC2:TGID_X_EN: 1
; COMPUTE_PGM_RSRC2:TGID_Y_EN: 1
; COMPUTE_PGM_RSRC2:TGID_Z_EN: 1
; COMPUTE_PGM_RSRC2:TIDIG_COMP_CNT: 2
	.section	.text._ZL19k_bin_bcast_unravelIXadL_ZL6op_addffEE6__halffS0_JPKfS2_S2_S2_S2_S2_S2_EEvPKT0_PKT1_PT2_15HIP_vector_typeIjLj3EESC_SC_jSC_SC_SC_SC_SC_SC_iiiiiiiiiiiDpT3_,"axG",@progbits,_ZL19k_bin_bcast_unravelIXadL_ZL6op_addffEE6__halffS0_JPKfS2_S2_S2_S2_S2_S2_EEvPKT0_PKT1_PT2_15HIP_vector_typeIjLj3EESC_SC_jSC_SC_SC_SC_SC_SC_iiiiiiiiiiiDpT3_,comdat
	.globl	_ZL19k_bin_bcast_unravelIXadL_ZL6op_addffEE6__halffS0_JPKfS2_S2_S2_S2_S2_S2_EEvPKT0_PKT1_PT2_15HIP_vector_typeIjLj3EESC_SC_jSC_SC_SC_SC_SC_SC_iiiiiiiiiiiDpT3_ ; -- Begin function _ZL19k_bin_bcast_unravelIXadL_ZL6op_addffEE6__halffS0_JPKfS2_S2_S2_S2_S2_S2_EEvPKT0_PKT1_PT2_15HIP_vector_typeIjLj3EESC_SC_jSC_SC_SC_SC_SC_SC_iiiiiiiiiiiDpT3_
	.p2align	8
	.type	_ZL19k_bin_bcast_unravelIXadL_ZL6op_addffEE6__halffS0_JPKfS2_S2_S2_S2_S2_S2_EEvPKT0_PKT1_PT2_15HIP_vector_typeIjLj3EESC_SC_jSC_SC_SC_SC_SC_SC_iiiiiiiiiiiDpT3_,@function
_ZL19k_bin_bcast_unravelIXadL_ZL6op_addffEE6__halffS0_JPKfS2_S2_S2_S2_S2_S2_EEvPKT0_PKT1_PT2_15HIP_vector_typeIjLj3EESC_SC_jSC_SC_SC_SC_SC_SC_iiiiiiiiiiiDpT3_: ; @_ZL19k_bin_bcast_unravelIXadL_ZL6op_addffEE6__halffS0_JPKfS2_S2_S2_S2_S2_S2_EEvPKT0_PKT1_PT2_15HIP_vector_typeIjLj3EESC_SC_jSC_SC_SC_SC_SC_SC_iiiiiiiiiiiDpT3_
; %bb.0:
	s_load_dword s0, s[4:5], 0xfc
	s_load_dwordx8 s[8:15], s[4:5], 0x38
	s_waitcnt lgkmcnt(0)
	s_and_b32 s0, s0, 0xffff
	s_mul_i32 s6, s6, s0
	v_add_u32_e32 v0, s6, v0
	v_mul_hi_u32 v1, v0, s10
	s_load_dwordx4 s[0:3], s[4:5], 0x18
	s_waitcnt lgkmcnt(0)
	s_load_dword s3, s[4:5], 0x2c
	v_add_u32_e32 v1, v0, v1
	v_lshrrev_b32_e32 v1, s11, v1
	v_mul_lo_u32 v2, v1, s12
	v_sub_u32_e32 v0, v0, v2
	v_mul_hi_u32 v2, v0, s13
	v_add_u32_e32 v2, v0, v2
	v_lshrrev_b32_e32 v3, s14, v2
	v_mul_lo_u32 v2, v3, s15
	v_cmp_gt_u32_e32 vcc, s8, v3
	v_sub_u32_e32 v0, v0, v2
	v_mul_hi_u32 v2, v0, s0
	v_add_u32_e32 v2, v0, v2
	v_lshrrev_b32_e32 v4, s1, v2
	v_mul_lo_u32 v2, v4, s2
	s_waitcnt lgkmcnt(0)
	v_cmp_gt_u32_e64 s[0:1], s3, v4
	v_sub_u32_e32 v0, v0, v2
	v_cmp_gt_u32_e64 s[2:3], s2, v0
	s_and_b64 s[0:1], s[2:3], s[0:1]
	s_and_b64 s[0:1], s[0:1], vcc
	v_cmp_gt_u32_e32 vcc, s9, v1
	s_and_b64 s[0:1], vcc, s[0:1]
	s_and_saveexec_b64 s[2:3], s[0:1]
	s_cbranch_execz .LBB84_4
; %bb.1:
	s_load_dwordx2 s[6:7], s[4:5], 0x0
	s_load_dwordx4 s[0:3], s[4:5], 0xa8
	s_load_dwordx8 s[8:15], s[4:5], 0x88
	s_load_dwordx4 s[24:27], s[4:5], 0x78
	s_load_dwordx8 s[16:23], s[4:5], 0x58
	v_mov_b32_e32 v2, 0
	s_waitcnt lgkmcnt(0)
	s_cmp_eq_u64 s[6:7], 0
	v_mov_b32_e32 v5, 0
	s_cbranch_scc1 .LBB84_3
; %bb.2:
	v_mul_lo_u32 v5, v1, s14
	v_mul_lo_u32 v7, v3, s13
	;; [unrolled: 1-line block ×3, first 2 shown]
	v_mov_b32_e32 v6, 0
	v_mov_b32_e32 v9, s7
	v_add3_u32 v5, v7, v5, v8
	v_lshlrev_b64 v[7:8], 1, v[5:6]
	v_mul_lo_u32 v5, v0, s11
	v_add_co_u32_e32 v7, vcc, s6, v7
	v_addc_co_u32_e32 v8, vcc, v9, v8, vcc
	v_lshlrev_b64 v[5:6], 1, v[5:6]
	v_add_co_u32_e32 v5, vcc, v7, v5
	v_addc_co_u32_e32 v6, vcc, v8, v6, vcc
	global_load_ushort v5, v[5:6], off
	s_waitcnt vmcnt(0)
	v_cvt_f32_f16_e32 v5, v5
.LBB84_3:
	v_mul_hi_u32 v6, s19, v4
	v_mul_hi_u32 v7, s22, v3
	;; [unrolled: 1-line block ×4, first 2 shown]
	v_add_u32_e32 v6, v4, v6
	v_add_u32_e32 v7, v3, v7
	;; [unrolled: 1-line block ×3, first 2 shown]
	v_lshrrev_b32_e32 v6, s20, v6
	v_lshrrev_b32_e32 v7, s23, v7
	;; [unrolled: 1-line block ×3, first 2 shown]
	v_mul_lo_u32 v6, v6, s21
	v_mul_lo_u32 v7, v7, s24
	;; [unrolled: 1-line block ×3, first 2 shown]
	v_add_u32_e32 v9, v0, v9
	v_sub_u32_e32 v6, v4, v6
	v_sub_u32_e32 v7, v3, v7
	;; [unrolled: 1-line block ×3, first 2 shown]
	v_lshrrev_b32_e32 v9, s17, v9
	v_mul_lo_u32 v8, v8, s2
	v_mul_lo_u32 v7, v7, s1
	v_mul_lo_u32 v6, v6, s0
	v_mul_lo_u32 v9, v9, s18
	v_mul_lo_u32 v15, v4, s8
	v_add3_u32 v6, v7, v8, v6
	v_sub_u32_e32 v8, v0, v9
	v_mul_lo_u32 v8, v8, s15
	s_load_dwordx2 s[6:7], s[4:5], 0xe8
	s_load_dwordx4 s[0:3], s[4:5], 0xd8
	s_load_dwordx8 s[12:19], s[4:5], 0xb8
	v_ashrrev_i32_e32 v7, 31, v6
	v_ashrrev_i32_e32 v9, 31, v8
	v_add_co_u32_e32 v6, vcc, v8, v6
	v_addc_co_u32_e32 v7, vcc, v9, v7, vcc
	v_lshlrev_b64 v[6:7], 2, v[6:7]
	s_waitcnt lgkmcnt(0)
	v_mov_b32_e32 v9, s13
	v_add_co_u32_e32 v8, vcc, s12, v6
	v_addc_co_u32_e32 v9, vcc, v9, v7, vcc
	global_load_dword v10, v[8:9], off
	v_mov_b32_e32 v9, s15
	v_add_co_u32_e32 v8, vcc, s14, v6
	v_addc_co_u32_e32 v9, vcc, v9, v7, vcc
	global_load_dword v11, v[8:9], off
	v_mov_b32_e32 v9, s17
	v_add_co_u32_e32 v8, vcc, s16, v6
	v_addc_co_u32_e32 v9, vcc, v9, v7, vcc
	global_load_dword v12, v[8:9], off
	v_mov_b32_e32 v9, s19
	v_add_co_u32_e32 v8, vcc, s18, v6
	v_addc_co_u32_e32 v9, vcc, v9, v7, vcc
	global_load_dword v13, v[8:9], off
	v_mov_b32_e32 v9, s1
	v_add_co_u32_e32 v8, vcc, s0, v6
	v_addc_co_u32_e32 v9, vcc, v9, v7, vcc
	global_load_dword v14, v[8:9], off
	v_mov_b32_e32 v9, s3
	v_add_co_u32_e32 v8, vcc, s2, v6
	v_addc_co_u32_e32 v9, vcc, v9, v7, vcc
	global_load_dword v8, v[8:9], off
	v_mov_b32_e32 v9, s7
	v_add_co_u32_e32 v6, vcc, s6, v6
	v_addc_co_u32_e32 v7, vcc, v9, v7, vcc
	global_load_dword v6, v[6:7], off
	v_mul_lo_u32 v7, v1, s10
	v_mul_lo_u32 v9, v3, s9
	s_load_dwordx2 s[0:1], s[4:5], 0x10
	v_mov_b32_e32 v1, v2
	v_lshlrev_b64 v[3:4], 1, v[0:1]
	v_add3_u32 v1, v9, v7, v15
	v_lshlrev_b64 v[0:1], 1, v[1:2]
	s_waitcnt lgkmcnt(0)
	v_mov_b32_e32 v2, s1
	v_add_co_u32_e32 v0, vcc, s0, v0
	v_addc_co_u32_e32 v1, vcc, v2, v1, vcc
	v_add_co_u32_e32 v0, vcc, v0, v3
	v_addc_co_u32_e32 v1, vcc, v1, v4, vcc
	s_waitcnt vmcnt(6)
	v_add_f32_e32 v2, v5, v10
	s_waitcnt vmcnt(5)
	v_add_f32_e32 v2, v2, v11
	s_waitcnt vmcnt(4)
	v_add_f32_e32 v2, v2, v12
	s_waitcnt vmcnt(3)
	v_add_f32_e32 v2, v2, v13
	s_waitcnt vmcnt(2)
	v_add_f32_e32 v2, v2, v14
	s_waitcnt vmcnt(1)
	v_add_f32_e32 v2, v2, v8
	s_waitcnt vmcnt(0)
	v_add_f32_e32 v2, v2, v6
	v_cvt_f16_f32_e32 v2, v2
	global_store_short v[0:1], v2, off
.LBB84_4:
	s_endpgm
	.section	.rodata,"a",@progbits
	.p2align	6, 0x0
	.amdhsa_kernel _ZL19k_bin_bcast_unravelIXadL_ZL6op_addffEE6__halffS0_JPKfS2_S2_S2_S2_S2_S2_EEvPKT0_PKT1_PT2_15HIP_vector_typeIjLj3EESC_SC_jSC_SC_SC_SC_SC_SC_iiiiiiiiiiiDpT3_
		.amdhsa_group_segment_fixed_size 0
		.amdhsa_private_segment_fixed_size 0
		.amdhsa_kernarg_size 496
		.amdhsa_user_sgpr_count 6
		.amdhsa_user_sgpr_private_segment_buffer 1
		.amdhsa_user_sgpr_dispatch_ptr 0
		.amdhsa_user_sgpr_queue_ptr 0
		.amdhsa_user_sgpr_kernarg_segment_ptr 1
		.amdhsa_user_sgpr_dispatch_id 0
		.amdhsa_user_sgpr_flat_scratch_init 0
		.amdhsa_user_sgpr_private_segment_size 0
		.amdhsa_uses_dynamic_stack 0
		.amdhsa_system_sgpr_private_segment_wavefront_offset 0
		.amdhsa_system_sgpr_workgroup_id_x 1
		.amdhsa_system_sgpr_workgroup_id_y 0
		.amdhsa_system_sgpr_workgroup_id_z 0
		.amdhsa_system_sgpr_workgroup_info 0
		.amdhsa_system_vgpr_workitem_id 0
		.amdhsa_next_free_vgpr 16
		.amdhsa_next_free_sgpr 28
		.amdhsa_reserve_vcc 1
		.amdhsa_reserve_flat_scratch 0
		.amdhsa_float_round_mode_32 0
		.amdhsa_float_round_mode_16_64 0
		.amdhsa_float_denorm_mode_32 3
		.amdhsa_float_denorm_mode_16_64 3
		.amdhsa_dx10_clamp 1
		.amdhsa_ieee_mode 1
		.amdhsa_fp16_overflow 0
		.amdhsa_exception_fp_ieee_invalid_op 0
		.amdhsa_exception_fp_denorm_src 0
		.amdhsa_exception_fp_ieee_div_zero 0
		.amdhsa_exception_fp_ieee_overflow 0
		.amdhsa_exception_fp_ieee_underflow 0
		.amdhsa_exception_fp_ieee_inexact 0
		.amdhsa_exception_int_div_zero 0
	.end_amdhsa_kernel
	.section	.text._ZL19k_bin_bcast_unravelIXadL_ZL6op_addffEE6__halffS0_JPKfS2_S2_S2_S2_S2_S2_EEvPKT0_PKT1_PT2_15HIP_vector_typeIjLj3EESC_SC_jSC_SC_SC_SC_SC_SC_iiiiiiiiiiiDpT3_,"axG",@progbits,_ZL19k_bin_bcast_unravelIXadL_ZL6op_addffEE6__halffS0_JPKfS2_S2_S2_S2_S2_S2_EEvPKT0_PKT1_PT2_15HIP_vector_typeIjLj3EESC_SC_jSC_SC_SC_SC_SC_SC_iiiiiiiiiiiDpT3_,comdat
.Lfunc_end84:
	.size	_ZL19k_bin_bcast_unravelIXadL_ZL6op_addffEE6__halffS0_JPKfS2_S2_S2_S2_S2_S2_EEvPKT0_PKT1_PT2_15HIP_vector_typeIjLj3EESC_SC_jSC_SC_SC_SC_SC_SC_iiiiiiiiiiiDpT3_, .Lfunc_end84-_ZL19k_bin_bcast_unravelIXadL_ZL6op_addffEE6__halffS0_JPKfS2_S2_S2_S2_S2_S2_EEvPKT0_PKT1_PT2_15HIP_vector_typeIjLj3EESC_SC_jSC_SC_SC_SC_SC_SC_iiiiiiiiiiiDpT3_
                                        ; -- End function
	.set _ZL19k_bin_bcast_unravelIXadL_ZL6op_addffEE6__halffS0_JPKfS2_S2_S2_S2_S2_S2_EEvPKT0_PKT1_PT2_15HIP_vector_typeIjLj3EESC_SC_jSC_SC_SC_SC_SC_SC_iiiiiiiiiiiDpT3_.num_vgpr, 16
	.set _ZL19k_bin_bcast_unravelIXadL_ZL6op_addffEE6__halffS0_JPKfS2_S2_S2_S2_S2_S2_EEvPKT0_PKT1_PT2_15HIP_vector_typeIjLj3EESC_SC_jSC_SC_SC_SC_SC_SC_iiiiiiiiiiiDpT3_.num_agpr, 0
	.set _ZL19k_bin_bcast_unravelIXadL_ZL6op_addffEE6__halffS0_JPKfS2_S2_S2_S2_S2_S2_EEvPKT0_PKT1_PT2_15HIP_vector_typeIjLj3EESC_SC_jSC_SC_SC_SC_SC_SC_iiiiiiiiiiiDpT3_.numbered_sgpr, 28
	.set _ZL19k_bin_bcast_unravelIXadL_ZL6op_addffEE6__halffS0_JPKfS2_S2_S2_S2_S2_S2_EEvPKT0_PKT1_PT2_15HIP_vector_typeIjLj3EESC_SC_jSC_SC_SC_SC_SC_SC_iiiiiiiiiiiDpT3_.num_named_barrier, 0
	.set _ZL19k_bin_bcast_unravelIXadL_ZL6op_addffEE6__halffS0_JPKfS2_S2_S2_S2_S2_S2_EEvPKT0_PKT1_PT2_15HIP_vector_typeIjLj3EESC_SC_jSC_SC_SC_SC_SC_SC_iiiiiiiiiiiDpT3_.private_seg_size, 0
	.set _ZL19k_bin_bcast_unravelIXadL_ZL6op_addffEE6__halffS0_JPKfS2_S2_S2_S2_S2_S2_EEvPKT0_PKT1_PT2_15HIP_vector_typeIjLj3EESC_SC_jSC_SC_SC_SC_SC_SC_iiiiiiiiiiiDpT3_.uses_vcc, 1
	.set _ZL19k_bin_bcast_unravelIXadL_ZL6op_addffEE6__halffS0_JPKfS2_S2_S2_S2_S2_S2_EEvPKT0_PKT1_PT2_15HIP_vector_typeIjLj3EESC_SC_jSC_SC_SC_SC_SC_SC_iiiiiiiiiiiDpT3_.uses_flat_scratch, 0
	.set _ZL19k_bin_bcast_unravelIXadL_ZL6op_addffEE6__halffS0_JPKfS2_S2_S2_S2_S2_S2_EEvPKT0_PKT1_PT2_15HIP_vector_typeIjLj3EESC_SC_jSC_SC_SC_SC_SC_SC_iiiiiiiiiiiDpT3_.has_dyn_sized_stack, 0
	.set _ZL19k_bin_bcast_unravelIXadL_ZL6op_addffEE6__halffS0_JPKfS2_S2_S2_S2_S2_S2_EEvPKT0_PKT1_PT2_15HIP_vector_typeIjLj3EESC_SC_jSC_SC_SC_SC_SC_SC_iiiiiiiiiiiDpT3_.has_recursion, 0
	.set _ZL19k_bin_bcast_unravelIXadL_ZL6op_addffEE6__halffS0_JPKfS2_S2_S2_S2_S2_S2_EEvPKT0_PKT1_PT2_15HIP_vector_typeIjLj3EESC_SC_jSC_SC_SC_SC_SC_SC_iiiiiiiiiiiDpT3_.has_indirect_call, 0
	.section	.AMDGPU.csdata,"",@progbits
; Kernel info:
; codeLenInByte = 844
; TotalNumSgprs: 32
; NumVgprs: 16
; ScratchSize: 0
; MemoryBound: 0
; FloatMode: 240
; IeeeMode: 1
; LDSByteSize: 0 bytes/workgroup (compile time only)
; SGPRBlocks: 3
; VGPRBlocks: 3
; NumSGPRsForWavesPerEU: 32
; NumVGPRsForWavesPerEU: 16
; Occupancy: 10
; WaveLimiterHint : 1
; COMPUTE_PGM_RSRC2:SCRATCH_EN: 0
; COMPUTE_PGM_RSRC2:USER_SGPR: 6
; COMPUTE_PGM_RSRC2:TRAP_HANDLER: 0
; COMPUTE_PGM_RSRC2:TGID_X_EN: 1
; COMPUTE_PGM_RSRC2:TGID_Y_EN: 0
; COMPUTE_PGM_RSRC2:TGID_Z_EN: 0
; COMPUTE_PGM_RSRC2:TIDIG_COMP_CNT: 0
	.section	.text._ZL11k_bin_bcastIXadL_ZL6op_addffEE6__halffS0_JPKfS2_S2_S2_S2_S2_S2_EEvPKT0_PKT1_PT2_iii15HIP_vector_typeIjLj3EESC_SC_SC_SC_iiiiiiiiiiiDpT3_,"axG",@progbits,_ZL11k_bin_bcastIXadL_ZL6op_addffEE6__halffS0_JPKfS2_S2_S2_S2_S2_S2_EEvPKT0_PKT1_PT2_iii15HIP_vector_typeIjLj3EESC_SC_SC_SC_iiiiiiiiiiiDpT3_,comdat
	.globl	_ZL11k_bin_bcastIXadL_ZL6op_addffEE6__halffS0_JPKfS2_S2_S2_S2_S2_S2_EEvPKT0_PKT1_PT2_iii15HIP_vector_typeIjLj3EESC_SC_SC_SC_iiiiiiiiiiiDpT3_ ; -- Begin function _ZL11k_bin_bcastIXadL_ZL6op_addffEE6__halffS0_JPKfS2_S2_S2_S2_S2_S2_EEvPKT0_PKT1_PT2_iii15HIP_vector_typeIjLj3EESC_SC_SC_SC_iiiiiiiiiiiDpT3_
	.p2align	8
	.type	_ZL11k_bin_bcastIXadL_ZL6op_addffEE6__halffS0_JPKfS2_S2_S2_S2_S2_S2_EEvPKT0_PKT1_PT2_iii15HIP_vector_typeIjLj3EESC_SC_SC_SC_iiiiiiiiiiiDpT3_,@function
_ZL11k_bin_bcastIXadL_ZL6op_addffEE6__halffS0_JPKfS2_S2_S2_S2_S2_S2_EEvPKT0_PKT1_PT2_iii15HIP_vector_typeIjLj3EESC_SC_SC_SC_iiiiiiiiiiiDpT3_: ; @_ZL11k_bin_bcastIXadL_ZL6op_addffEE6__halffS0_JPKfS2_S2_S2_S2_S2_S2_EEvPKT0_PKT1_PT2_iii15HIP_vector_typeIjLj3EESC_SC_SC_SC_iiiiiiiiiiiDpT3_
; %bb.0:
	s_load_dwordx2 s[0:1], s[4:5], 0xd4
	s_load_dwordx8 s[12:19], s[4:5], 0x18
	s_add_u32 s2, s4, 0xc8
	s_addc_u32 s3, s5, 0
	s_waitcnt lgkmcnt(0)
	s_and_b32 s1, s1, 0xffff
	s_mul_i32 s8, s8, s1
	v_add_u32_e32 v3, s8, v2
	v_mul_hi_u32 v2, v3, s15
	s_lshr_b32 s1, s0, 16
	s_and_b32 s8, s0, 0xffff
	s_mul_i32 s6, s6, s8
	v_add_u32_e32 v2, v3, v2
	v_lshrrev_b32_e32 v2, s16, v2
	v_mul_lo_u32 v4, v2, s17
	s_mul_i32 s7, s7, s1
	v_add_u32_e32 v0, s6, v0
	v_add_u32_e32 v1, s7, v1
	v_cmp_gt_u32_e32 vcc, s12, v0
	v_cmp_gt_u32_e64 s[0:1], s13, v1
	v_sub_u32_e32 v3, v3, v4
	s_and_b64 s[0:1], vcc, s[0:1]
	v_cmp_gt_u32_e32 vcc, s14, v2
	s_and_b64 s[0:1], s[0:1], vcc
	v_cmp_gt_u32_e32 vcc, s17, v3
	s_and_b64 s[0:1], s[0:1], vcc
	s_and_saveexec_b64 s[6:7], s[0:1]
	s_cbranch_execz .LBB85_6
; %bb.1:
	v_cmp_gt_i32_e32 vcc, s12, v0
	s_and_b64 exec, exec, vcc
	s_cbranch_execz .LBB85_6
; %bb.2:
	s_load_dwordx8 s[36:43], s[4:5], 0x3c
	s_load_dwordx8 s[20:27], s[4:5], 0x60
	s_load_dwordx4 s[28:31], s[4:5], 0x80
	s_load_dword s6, s[2:3], 0x0
	s_load_dword s0, s[4:5], 0x5c
	s_waitcnt lgkmcnt(0)
	v_mul_hi_u32 v4, s36, v1
	v_mul_hi_u32 v5, s39, v2
	;; [unrolled: 1-line block ×3, first 2 shown]
	v_mul_lo_u32 v7, v3, s26
	v_add_u32_e32 v4, v1, v4
	v_add_u32_e32 v5, v2, v5
	;; [unrolled: 1-line block ×3, first 2 shown]
	v_lshrrev_b32_e32 v4, s37, v4
	v_lshrrev_b32_e32 v5, s40, v5
	;; [unrolled: 1-line block ×3, first 2 shown]
	v_mul_lo_u32 v4, v4, s38
	v_mul_lo_u32 v5, v5, s41
	v_mul_lo_u32 v6, v6, s0
	v_mul_lo_u32 v8, v2, s25
	v_mul_lo_u32 v9, v1, s24
	v_sub_u32_e32 v4, v1, v4
	v_sub_u32_e32 v5, v2, v5
	;; [unrolled: 1-line block ×3, first 2 shown]
	s_load_dword s9, s[4:5], 0x38
	s_load_dwordx2 s[0:1], s[4:5], 0x0
	s_load_dwordx2 s[2:3], s[4:5], 0x10
	v_mul_lo_u32 v6, v6, s30
	v_mul_lo_u32 v5, v5, s29
	;; [unrolled: 1-line block ×6, first 2 shown]
	v_add3_u32 v1, v8, v9, v7
	v_mov_b32_e32 v2, 0
	v_mov_b32_e32 v8, v2
	v_lshlrev_b64 v[1:2], 1, v[1:2]
	v_add3_u32 v4, v5, v6, v4
	v_add3_u32 v7, v10, v11, v3
	s_waitcnt lgkmcnt(0)
	v_mov_b32_e32 v3, s1
	v_add_co_u32_e32 v5, vcc, s0, v1
	v_addc_co_u32_e32 v6, vcc, v3, v2, vcc
	v_lshlrev_b64 v[1:2], 1, v[7:8]
	s_load_dwordx8 s[36:43], s[4:5], 0xb0
	s_load_dwordx8 s[44:51], s[4:5], 0x90
	v_mov_b32_e32 v3, s3
	v_add_co_u32_e32 v7, vcc, s2, v1
	v_addc_co_u32_e32 v8, vcc, v3, v2, vcc
	s_cmp_lg_u64 s[0:1], 0
	v_mul_lo_u32 v2, s23, v0
	s_cselect_b64 s[0:1], -1, 0
	s_mul_i32 s6, s6, s8
	v_cndmask_b32_e64 v1, 0, 1, s[0:1]
	s_mov_b64 s[4:5], 0
	s_mul_i32 s7, s6, s23
	s_sub_i32 s8, 0, s9
	v_cmp_ne_u32_e64 s[0:1], 1, v1
	s_waitcnt lgkmcnt(0)
	v_mov_b32_e32 v9, s45
	v_mov_b32_e32 v10, s47
	;; [unrolled: 1-line block ×7, first 2 shown]
	s_branch .LBB85_4
.LBB85_3:                               ;   in Loop: Header=BB85_4 Depth=1
	v_mul_hi_u32 v1, s18, v0
	v_add_u32_e32 v2, s7, v2
	v_add_u32_e32 v1, v0, v1
	v_lshrrev_b32_e32 v1, s19, v1
	v_mad_u64_u32 v[16:17], s[2:3], s8, v1, v[0:1]
	v_mul_lo_u32 v1, v16, s27
	v_add_co_u32_e32 v16, vcc, v1, v4
	v_addc_co_u32_e64 v17, s[2:3], 0, 0, vcc
	v_lshlrev_b64 v[16:17], 2, v[16:17]
	v_ashrrev_i32_e32 v1, 31, v0
	v_add_co_u32_e32 v18, vcc, s44, v16
	v_addc_co_u32_e32 v19, vcc, v9, v17, vcc
	v_add_co_u32_e32 v20, vcc, s46, v16
	v_addc_co_u32_e32 v21, vcc, v10, v17, vcc
	v_add_co_u32_e32 v22, vcc, s48, v16
	v_addc_co_u32_e32 v23, vcc, v11, v17, vcc
	v_add_co_u32_e32 v24, vcc, s50, v16
	v_addc_co_u32_e32 v25, vcc, v12, v17, vcc
	v_add_co_u32_e32 v26, vcc, s36, v16
	v_addc_co_u32_e32 v27, vcc, v13, v17, vcc
	v_add_co_u32_e32 v28, vcc, s38, v16
	v_addc_co_u32_e32 v29, vcc, v14, v17, vcc
	v_add_co_u32_e32 v16, vcc, s40, v16
	v_addc_co_u32_e32 v17, vcc, v15, v17, vcc
	global_load_dword v30, v[18:19], off
	global_load_dword v31, v[20:21], off
	global_load_dword v32, v[22:23], off
                                        ; kill: killed $vgpr20 killed $vgpr21
                                        ; kill: killed $vgpr22 killed $vgpr23
                                        ; kill: killed $vgpr18 killed $vgpr19
	s_nop 0
	global_load_dword v18, v[24:25], off
	global_load_dword v19, v[26:27], off
	global_load_dword v20, v[28:29], off
	global_load_dword v21, v[16:17], off
	v_lshlrev_b64 v[16:17], 1, v[0:1]
	v_add_u32_e32 v0, s6, v0
	v_cmp_le_i32_e32 vcc, s12, v0
	v_add_co_u32_e64 v16, s[2:3], v7, v16
	v_addc_co_u32_e64 v17, s[2:3], v8, v17, s[2:3]
	s_or_b64 s[4:5], vcc, s[4:5]
	s_waitcnt vmcnt(6)
	v_add_f32_e32 v1, v3, v30
	s_waitcnt vmcnt(5)
	v_add_f32_e32 v1, v1, v31
	;; [unrolled: 2-line block ×7, first 2 shown]
	v_cvt_f16_f32_e32 v1, v1
	global_store_short v[16:17], v1, off
	s_andn2_b64 exec, exec, s[4:5]
	s_cbranch_execz .LBB85_6
.LBB85_4:                               ; =>This Inner Loop Header: Depth=1
	s_and_b64 vcc, exec, s[0:1]
	v_mov_b32_e32 v3, 0
	s_cbranch_vccnz .LBB85_3
; %bb.5:                                ;   in Loop: Header=BB85_4 Depth=1
	v_ashrrev_i32_e32 v3, 31, v2
	v_lshlrev_b64 v[16:17], 1, v[2:3]
	v_add_co_u32_e32 v16, vcc, v5, v16
	v_addc_co_u32_e32 v17, vcc, v6, v17, vcc
	global_load_ushort v1, v[16:17], off
	s_waitcnt vmcnt(0)
	v_cvt_f32_f16_e32 v3, v1
	s_branch .LBB85_3
.LBB85_6:
	s_endpgm
	.section	.rodata,"a",@progbits
	.p2align	6, 0x0
	.amdhsa_kernel _ZL11k_bin_bcastIXadL_ZL6op_addffEE6__halffS0_JPKfS2_S2_S2_S2_S2_S2_EEvPKT0_PKT1_PT2_iii15HIP_vector_typeIjLj3EESC_SC_SC_SC_iiiiiiiiiiiDpT3_
		.amdhsa_group_segment_fixed_size 0
		.amdhsa_private_segment_fixed_size 0
		.amdhsa_kernarg_size 456
		.amdhsa_user_sgpr_count 6
		.amdhsa_user_sgpr_private_segment_buffer 1
		.amdhsa_user_sgpr_dispatch_ptr 0
		.amdhsa_user_sgpr_queue_ptr 0
		.amdhsa_user_sgpr_kernarg_segment_ptr 1
		.amdhsa_user_sgpr_dispatch_id 0
		.amdhsa_user_sgpr_flat_scratch_init 0
		.amdhsa_user_sgpr_private_segment_size 0
		.amdhsa_uses_dynamic_stack 0
		.amdhsa_system_sgpr_private_segment_wavefront_offset 0
		.amdhsa_system_sgpr_workgroup_id_x 1
		.amdhsa_system_sgpr_workgroup_id_y 1
		.amdhsa_system_sgpr_workgroup_id_z 1
		.amdhsa_system_sgpr_workgroup_info 0
		.amdhsa_system_vgpr_workitem_id 2
		.amdhsa_next_free_vgpr 33
		.amdhsa_next_free_sgpr 52
		.amdhsa_reserve_vcc 1
		.amdhsa_reserve_flat_scratch 0
		.amdhsa_float_round_mode_32 0
		.amdhsa_float_round_mode_16_64 0
		.amdhsa_float_denorm_mode_32 3
		.amdhsa_float_denorm_mode_16_64 3
		.amdhsa_dx10_clamp 1
		.amdhsa_ieee_mode 1
		.amdhsa_fp16_overflow 0
		.amdhsa_exception_fp_ieee_invalid_op 0
		.amdhsa_exception_fp_denorm_src 0
		.amdhsa_exception_fp_ieee_div_zero 0
		.amdhsa_exception_fp_ieee_overflow 0
		.amdhsa_exception_fp_ieee_underflow 0
		.amdhsa_exception_fp_ieee_inexact 0
		.amdhsa_exception_int_div_zero 0
	.end_amdhsa_kernel
	.section	.text._ZL11k_bin_bcastIXadL_ZL6op_addffEE6__halffS0_JPKfS2_S2_S2_S2_S2_S2_EEvPKT0_PKT1_PT2_iii15HIP_vector_typeIjLj3EESC_SC_SC_SC_iiiiiiiiiiiDpT3_,"axG",@progbits,_ZL11k_bin_bcastIXadL_ZL6op_addffEE6__halffS0_JPKfS2_S2_S2_S2_S2_S2_EEvPKT0_PKT1_PT2_iii15HIP_vector_typeIjLj3EESC_SC_SC_SC_iiiiiiiiiiiDpT3_,comdat
.Lfunc_end85:
	.size	_ZL11k_bin_bcastIXadL_ZL6op_addffEE6__halffS0_JPKfS2_S2_S2_S2_S2_S2_EEvPKT0_PKT1_PT2_iii15HIP_vector_typeIjLj3EESC_SC_SC_SC_iiiiiiiiiiiDpT3_, .Lfunc_end85-_ZL11k_bin_bcastIXadL_ZL6op_addffEE6__halffS0_JPKfS2_S2_S2_S2_S2_S2_EEvPKT0_PKT1_PT2_iii15HIP_vector_typeIjLj3EESC_SC_SC_SC_iiiiiiiiiiiDpT3_
                                        ; -- End function
	.set _ZL11k_bin_bcastIXadL_ZL6op_addffEE6__halffS0_JPKfS2_S2_S2_S2_S2_S2_EEvPKT0_PKT1_PT2_iii15HIP_vector_typeIjLj3EESC_SC_SC_SC_iiiiiiiiiiiDpT3_.num_vgpr, 33
	.set _ZL11k_bin_bcastIXadL_ZL6op_addffEE6__halffS0_JPKfS2_S2_S2_S2_S2_S2_EEvPKT0_PKT1_PT2_iii15HIP_vector_typeIjLj3EESC_SC_SC_SC_iiiiiiiiiiiDpT3_.num_agpr, 0
	.set _ZL11k_bin_bcastIXadL_ZL6op_addffEE6__halffS0_JPKfS2_S2_S2_S2_S2_S2_EEvPKT0_PKT1_PT2_iii15HIP_vector_typeIjLj3EESC_SC_SC_SC_iiiiiiiiiiiDpT3_.numbered_sgpr, 52
	.set _ZL11k_bin_bcastIXadL_ZL6op_addffEE6__halffS0_JPKfS2_S2_S2_S2_S2_S2_EEvPKT0_PKT1_PT2_iii15HIP_vector_typeIjLj3EESC_SC_SC_SC_iiiiiiiiiiiDpT3_.num_named_barrier, 0
	.set _ZL11k_bin_bcastIXadL_ZL6op_addffEE6__halffS0_JPKfS2_S2_S2_S2_S2_S2_EEvPKT0_PKT1_PT2_iii15HIP_vector_typeIjLj3EESC_SC_SC_SC_iiiiiiiiiiiDpT3_.private_seg_size, 0
	.set _ZL11k_bin_bcastIXadL_ZL6op_addffEE6__halffS0_JPKfS2_S2_S2_S2_S2_S2_EEvPKT0_PKT1_PT2_iii15HIP_vector_typeIjLj3EESC_SC_SC_SC_iiiiiiiiiiiDpT3_.uses_vcc, 1
	.set _ZL11k_bin_bcastIXadL_ZL6op_addffEE6__halffS0_JPKfS2_S2_S2_S2_S2_S2_EEvPKT0_PKT1_PT2_iii15HIP_vector_typeIjLj3EESC_SC_SC_SC_iiiiiiiiiiiDpT3_.uses_flat_scratch, 0
	.set _ZL11k_bin_bcastIXadL_ZL6op_addffEE6__halffS0_JPKfS2_S2_S2_S2_S2_S2_EEvPKT0_PKT1_PT2_iii15HIP_vector_typeIjLj3EESC_SC_SC_SC_iiiiiiiiiiiDpT3_.has_dyn_sized_stack, 0
	.set _ZL11k_bin_bcastIXadL_ZL6op_addffEE6__halffS0_JPKfS2_S2_S2_S2_S2_S2_EEvPKT0_PKT1_PT2_iii15HIP_vector_typeIjLj3EESC_SC_SC_SC_iiiiiiiiiiiDpT3_.has_recursion, 0
	.set _ZL11k_bin_bcastIXadL_ZL6op_addffEE6__halffS0_JPKfS2_S2_S2_S2_S2_S2_EEvPKT0_PKT1_PT2_iii15HIP_vector_typeIjLj3EESC_SC_SC_SC_iiiiiiiiiiiDpT3_.has_indirect_call, 0
	.section	.AMDGPU.csdata,"",@progbits
; Kernel info:
; codeLenInByte = 900
; TotalNumSgprs: 56
; NumVgprs: 33
; ScratchSize: 0
; MemoryBound: 0
; FloatMode: 240
; IeeeMode: 1
; LDSByteSize: 0 bytes/workgroup (compile time only)
; SGPRBlocks: 6
; VGPRBlocks: 8
; NumSGPRsForWavesPerEU: 56
; NumVGPRsForWavesPerEU: 33
; Occupancy: 7
; WaveLimiterHint : 1
; COMPUTE_PGM_RSRC2:SCRATCH_EN: 0
; COMPUTE_PGM_RSRC2:USER_SGPR: 6
; COMPUTE_PGM_RSRC2:TRAP_HANDLER: 0
; COMPUTE_PGM_RSRC2:TGID_X_EN: 1
; COMPUTE_PGM_RSRC2:TGID_Y_EN: 1
; COMPUTE_PGM_RSRC2:TGID_Z_EN: 1
; COMPUTE_PGM_RSRC2:TIDIG_COMP_CNT: 2
	.section	.text._ZL19k_bin_bcast_unravelIXadL_ZL6op_addffEE6__halfffJPKfS2_S2_S2_S2_S2_S2_EEvPKT0_PKT1_PT2_15HIP_vector_typeIjLj3EESC_SC_jSC_SC_SC_SC_SC_SC_iiiiiiiiiiiDpT3_,"axG",@progbits,_ZL19k_bin_bcast_unravelIXadL_ZL6op_addffEE6__halfffJPKfS2_S2_S2_S2_S2_S2_EEvPKT0_PKT1_PT2_15HIP_vector_typeIjLj3EESC_SC_jSC_SC_SC_SC_SC_SC_iiiiiiiiiiiDpT3_,comdat
	.globl	_ZL19k_bin_bcast_unravelIXadL_ZL6op_addffEE6__halfffJPKfS2_S2_S2_S2_S2_S2_EEvPKT0_PKT1_PT2_15HIP_vector_typeIjLj3EESC_SC_jSC_SC_SC_SC_SC_SC_iiiiiiiiiiiDpT3_ ; -- Begin function _ZL19k_bin_bcast_unravelIXadL_ZL6op_addffEE6__halfffJPKfS2_S2_S2_S2_S2_S2_EEvPKT0_PKT1_PT2_15HIP_vector_typeIjLj3EESC_SC_jSC_SC_SC_SC_SC_SC_iiiiiiiiiiiDpT3_
	.p2align	8
	.type	_ZL19k_bin_bcast_unravelIXadL_ZL6op_addffEE6__halfffJPKfS2_S2_S2_S2_S2_S2_EEvPKT0_PKT1_PT2_15HIP_vector_typeIjLj3EESC_SC_jSC_SC_SC_SC_SC_SC_iiiiiiiiiiiDpT3_,@function
_ZL19k_bin_bcast_unravelIXadL_ZL6op_addffEE6__halfffJPKfS2_S2_S2_S2_S2_S2_EEvPKT0_PKT1_PT2_15HIP_vector_typeIjLj3EESC_SC_jSC_SC_SC_SC_SC_SC_iiiiiiiiiiiDpT3_: ; @_ZL19k_bin_bcast_unravelIXadL_ZL6op_addffEE6__halfffJPKfS2_S2_S2_S2_S2_S2_EEvPKT0_PKT1_PT2_15HIP_vector_typeIjLj3EESC_SC_jSC_SC_SC_SC_SC_SC_iiiiiiiiiiiDpT3_
; %bb.0:
	s_load_dword s0, s[4:5], 0xfc
	s_load_dwordx8 s[8:15], s[4:5], 0x38
	s_waitcnt lgkmcnt(0)
	s_and_b32 s0, s0, 0xffff
	s_mul_i32 s6, s6, s0
	v_add_u32_e32 v0, s6, v0
	v_mul_hi_u32 v1, v0, s10
	s_load_dwordx4 s[0:3], s[4:5], 0x18
	s_waitcnt lgkmcnt(0)
	s_load_dword s3, s[4:5], 0x2c
	v_add_u32_e32 v1, v0, v1
	v_lshrrev_b32_e32 v1, s11, v1
	v_mul_lo_u32 v2, v1, s12
	v_sub_u32_e32 v0, v0, v2
	v_mul_hi_u32 v2, v0, s13
	v_add_u32_e32 v2, v0, v2
	v_lshrrev_b32_e32 v3, s14, v2
	v_mul_lo_u32 v2, v3, s15
	v_cmp_gt_u32_e32 vcc, s8, v3
	v_sub_u32_e32 v0, v0, v2
	v_mul_hi_u32 v2, v0, s0
	v_add_u32_e32 v2, v0, v2
	v_lshrrev_b32_e32 v4, s1, v2
	v_mul_lo_u32 v2, v4, s2
	s_waitcnt lgkmcnt(0)
	v_cmp_gt_u32_e64 s[0:1], s3, v4
	v_sub_u32_e32 v0, v0, v2
	v_cmp_gt_u32_e64 s[2:3], s2, v0
	s_and_b64 s[0:1], s[2:3], s[0:1]
	s_and_b64 s[0:1], s[0:1], vcc
	v_cmp_gt_u32_e32 vcc, s9, v1
	s_and_b64 s[0:1], vcc, s[0:1]
	s_and_saveexec_b64 s[2:3], s[0:1]
	s_cbranch_execz .LBB86_4
; %bb.1:
	s_load_dwordx2 s[6:7], s[4:5], 0x0
	s_load_dwordx4 s[0:3], s[4:5], 0xa8
	s_load_dwordx8 s[8:15], s[4:5], 0x88
	s_load_dwordx4 s[24:27], s[4:5], 0x78
	s_load_dwordx8 s[16:23], s[4:5], 0x58
	v_mov_b32_e32 v2, 0
	s_waitcnt lgkmcnt(0)
	s_cmp_eq_u64 s[6:7], 0
	v_mov_b32_e32 v5, 0
	s_cbranch_scc1 .LBB86_3
; %bb.2:
	v_mul_lo_u32 v5, v1, s14
	v_mul_lo_u32 v7, v3, s13
	;; [unrolled: 1-line block ×3, first 2 shown]
	v_mov_b32_e32 v6, 0
	v_mov_b32_e32 v9, s7
	v_add3_u32 v5, v7, v5, v8
	v_lshlrev_b64 v[7:8], 1, v[5:6]
	v_mul_lo_u32 v5, v0, s11
	v_add_co_u32_e32 v7, vcc, s6, v7
	v_addc_co_u32_e32 v8, vcc, v9, v8, vcc
	v_lshlrev_b64 v[5:6], 1, v[5:6]
	v_add_co_u32_e32 v5, vcc, v7, v5
	v_addc_co_u32_e32 v6, vcc, v8, v6, vcc
	global_load_ushort v5, v[5:6], off
	s_waitcnt vmcnt(0)
	v_cvt_f32_f16_e32 v5, v5
.LBB86_3:
	v_mul_hi_u32 v6, s19, v4
	v_mul_hi_u32 v7, s22, v3
	;; [unrolled: 1-line block ×4, first 2 shown]
	v_add_u32_e32 v6, v4, v6
	v_add_u32_e32 v7, v3, v7
	;; [unrolled: 1-line block ×3, first 2 shown]
	v_lshrrev_b32_e32 v6, s20, v6
	v_lshrrev_b32_e32 v7, s23, v7
	;; [unrolled: 1-line block ×3, first 2 shown]
	v_mul_lo_u32 v6, v6, s21
	v_mul_lo_u32 v7, v7, s24
	;; [unrolled: 1-line block ×3, first 2 shown]
	v_add_u32_e32 v9, v0, v9
	v_sub_u32_e32 v6, v4, v6
	v_sub_u32_e32 v7, v3, v7
	v_sub_u32_e32 v8, v1, v8
	v_lshrrev_b32_e32 v9, s17, v9
	v_mul_lo_u32 v8, v8, s2
	v_mul_lo_u32 v7, v7, s1
	;; [unrolled: 1-line block ×5, first 2 shown]
	v_add3_u32 v6, v7, v8, v6
	v_sub_u32_e32 v8, v0, v9
	v_mul_lo_u32 v8, v8, s15
	s_load_dwordx2 s[6:7], s[4:5], 0xe8
	s_load_dwordx4 s[0:3], s[4:5], 0xd8
	s_load_dwordx8 s[12:19], s[4:5], 0xb8
	v_ashrrev_i32_e32 v7, 31, v6
	v_ashrrev_i32_e32 v9, 31, v8
	v_add_co_u32_e32 v6, vcc, v8, v6
	v_addc_co_u32_e32 v7, vcc, v9, v7, vcc
	v_lshlrev_b64 v[6:7], 2, v[6:7]
	s_waitcnt lgkmcnt(0)
	v_mov_b32_e32 v9, s13
	v_add_co_u32_e32 v8, vcc, s12, v6
	v_addc_co_u32_e32 v9, vcc, v9, v7, vcc
	global_load_dword v10, v[8:9], off
	v_mov_b32_e32 v9, s15
	v_add_co_u32_e32 v8, vcc, s14, v6
	v_addc_co_u32_e32 v9, vcc, v9, v7, vcc
	global_load_dword v11, v[8:9], off
	v_mov_b32_e32 v9, s17
	v_add_co_u32_e32 v8, vcc, s16, v6
	v_addc_co_u32_e32 v9, vcc, v9, v7, vcc
	global_load_dword v12, v[8:9], off
	v_mov_b32_e32 v9, s19
	v_add_co_u32_e32 v8, vcc, s18, v6
	v_addc_co_u32_e32 v9, vcc, v9, v7, vcc
	global_load_dword v13, v[8:9], off
	v_mov_b32_e32 v9, s1
	v_add_co_u32_e32 v8, vcc, s0, v6
	v_addc_co_u32_e32 v9, vcc, v9, v7, vcc
	global_load_dword v14, v[8:9], off
	v_mov_b32_e32 v9, s3
	v_add_co_u32_e32 v8, vcc, s2, v6
	v_addc_co_u32_e32 v9, vcc, v9, v7, vcc
	global_load_dword v8, v[8:9], off
	v_mov_b32_e32 v9, s7
	v_add_co_u32_e32 v6, vcc, s6, v6
	v_addc_co_u32_e32 v7, vcc, v9, v7, vcc
	global_load_dword v6, v[6:7], off
	v_mul_lo_u32 v7, v1, s10
	v_mul_lo_u32 v9, v3, s9
	s_load_dwordx2 s[0:1], s[4:5], 0x10
	v_mov_b32_e32 v1, v2
	v_lshlrev_b64 v[3:4], 2, v[0:1]
	v_add3_u32 v1, v9, v7, v15
	v_lshlrev_b64 v[0:1], 2, v[1:2]
	s_waitcnt lgkmcnt(0)
	v_mov_b32_e32 v2, s1
	v_add_co_u32_e32 v0, vcc, s0, v0
	v_addc_co_u32_e32 v1, vcc, v2, v1, vcc
	v_add_co_u32_e32 v0, vcc, v0, v3
	v_addc_co_u32_e32 v1, vcc, v1, v4, vcc
	s_waitcnt vmcnt(6)
	v_add_f32_e32 v2, v5, v10
	s_waitcnt vmcnt(5)
	v_add_f32_e32 v2, v2, v11
	;; [unrolled: 2-line block ×7, first 2 shown]
	global_store_dword v[0:1], v2, off
.LBB86_4:
	s_endpgm
	.section	.rodata,"a",@progbits
	.p2align	6, 0x0
	.amdhsa_kernel _ZL19k_bin_bcast_unravelIXadL_ZL6op_addffEE6__halfffJPKfS2_S2_S2_S2_S2_S2_EEvPKT0_PKT1_PT2_15HIP_vector_typeIjLj3EESC_SC_jSC_SC_SC_SC_SC_SC_iiiiiiiiiiiDpT3_
		.amdhsa_group_segment_fixed_size 0
		.amdhsa_private_segment_fixed_size 0
		.amdhsa_kernarg_size 496
		.amdhsa_user_sgpr_count 6
		.amdhsa_user_sgpr_private_segment_buffer 1
		.amdhsa_user_sgpr_dispatch_ptr 0
		.amdhsa_user_sgpr_queue_ptr 0
		.amdhsa_user_sgpr_kernarg_segment_ptr 1
		.amdhsa_user_sgpr_dispatch_id 0
		.amdhsa_user_sgpr_flat_scratch_init 0
		.amdhsa_user_sgpr_private_segment_size 0
		.amdhsa_uses_dynamic_stack 0
		.amdhsa_system_sgpr_private_segment_wavefront_offset 0
		.amdhsa_system_sgpr_workgroup_id_x 1
		.amdhsa_system_sgpr_workgroup_id_y 0
		.amdhsa_system_sgpr_workgroup_id_z 0
		.amdhsa_system_sgpr_workgroup_info 0
		.amdhsa_system_vgpr_workitem_id 0
		.amdhsa_next_free_vgpr 16
		.amdhsa_next_free_sgpr 28
		.amdhsa_reserve_vcc 1
		.amdhsa_reserve_flat_scratch 0
		.amdhsa_float_round_mode_32 0
		.amdhsa_float_round_mode_16_64 0
		.amdhsa_float_denorm_mode_32 3
		.amdhsa_float_denorm_mode_16_64 3
		.amdhsa_dx10_clamp 1
		.amdhsa_ieee_mode 1
		.amdhsa_fp16_overflow 0
		.amdhsa_exception_fp_ieee_invalid_op 0
		.amdhsa_exception_fp_denorm_src 0
		.amdhsa_exception_fp_ieee_div_zero 0
		.amdhsa_exception_fp_ieee_overflow 0
		.amdhsa_exception_fp_ieee_underflow 0
		.amdhsa_exception_fp_ieee_inexact 0
		.amdhsa_exception_int_div_zero 0
	.end_amdhsa_kernel
	.section	.text._ZL19k_bin_bcast_unravelIXadL_ZL6op_addffEE6__halfffJPKfS2_S2_S2_S2_S2_S2_EEvPKT0_PKT1_PT2_15HIP_vector_typeIjLj3EESC_SC_jSC_SC_SC_SC_SC_SC_iiiiiiiiiiiDpT3_,"axG",@progbits,_ZL19k_bin_bcast_unravelIXadL_ZL6op_addffEE6__halfffJPKfS2_S2_S2_S2_S2_S2_EEvPKT0_PKT1_PT2_15HIP_vector_typeIjLj3EESC_SC_jSC_SC_SC_SC_SC_SC_iiiiiiiiiiiDpT3_,comdat
.Lfunc_end86:
	.size	_ZL19k_bin_bcast_unravelIXadL_ZL6op_addffEE6__halfffJPKfS2_S2_S2_S2_S2_S2_EEvPKT0_PKT1_PT2_15HIP_vector_typeIjLj3EESC_SC_jSC_SC_SC_SC_SC_SC_iiiiiiiiiiiDpT3_, .Lfunc_end86-_ZL19k_bin_bcast_unravelIXadL_ZL6op_addffEE6__halfffJPKfS2_S2_S2_S2_S2_S2_EEvPKT0_PKT1_PT2_15HIP_vector_typeIjLj3EESC_SC_jSC_SC_SC_SC_SC_SC_iiiiiiiiiiiDpT3_
                                        ; -- End function
	.set _ZL19k_bin_bcast_unravelIXadL_ZL6op_addffEE6__halfffJPKfS2_S2_S2_S2_S2_S2_EEvPKT0_PKT1_PT2_15HIP_vector_typeIjLj3EESC_SC_jSC_SC_SC_SC_SC_SC_iiiiiiiiiiiDpT3_.num_vgpr, 16
	.set _ZL19k_bin_bcast_unravelIXadL_ZL6op_addffEE6__halfffJPKfS2_S2_S2_S2_S2_S2_EEvPKT0_PKT1_PT2_15HIP_vector_typeIjLj3EESC_SC_jSC_SC_SC_SC_SC_SC_iiiiiiiiiiiDpT3_.num_agpr, 0
	.set _ZL19k_bin_bcast_unravelIXadL_ZL6op_addffEE6__halfffJPKfS2_S2_S2_S2_S2_S2_EEvPKT0_PKT1_PT2_15HIP_vector_typeIjLj3EESC_SC_jSC_SC_SC_SC_SC_SC_iiiiiiiiiiiDpT3_.numbered_sgpr, 28
	.set _ZL19k_bin_bcast_unravelIXadL_ZL6op_addffEE6__halfffJPKfS2_S2_S2_S2_S2_S2_EEvPKT0_PKT1_PT2_15HIP_vector_typeIjLj3EESC_SC_jSC_SC_SC_SC_SC_SC_iiiiiiiiiiiDpT3_.num_named_barrier, 0
	.set _ZL19k_bin_bcast_unravelIXadL_ZL6op_addffEE6__halfffJPKfS2_S2_S2_S2_S2_S2_EEvPKT0_PKT1_PT2_15HIP_vector_typeIjLj3EESC_SC_jSC_SC_SC_SC_SC_SC_iiiiiiiiiiiDpT3_.private_seg_size, 0
	.set _ZL19k_bin_bcast_unravelIXadL_ZL6op_addffEE6__halfffJPKfS2_S2_S2_S2_S2_S2_EEvPKT0_PKT1_PT2_15HIP_vector_typeIjLj3EESC_SC_jSC_SC_SC_SC_SC_SC_iiiiiiiiiiiDpT3_.uses_vcc, 1
	.set _ZL19k_bin_bcast_unravelIXadL_ZL6op_addffEE6__halfffJPKfS2_S2_S2_S2_S2_S2_EEvPKT0_PKT1_PT2_15HIP_vector_typeIjLj3EESC_SC_jSC_SC_SC_SC_SC_SC_iiiiiiiiiiiDpT3_.uses_flat_scratch, 0
	.set _ZL19k_bin_bcast_unravelIXadL_ZL6op_addffEE6__halfffJPKfS2_S2_S2_S2_S2_S2_EEvPKT0_PKT1_PT2_15HIP_vector_typeIjLj3EESC_SC_jSC_SC_SC_SC_SC_SC_iiiiiiiiiiiDpT3_.has_dyn_sized_stack, 0
	.set _ZL19k_bin_bcast_unravelIXadL_ZL6op_addffEE6__halfffJPKfS2_S2_S2_S2_S2_S2_EEvPKT0_PKT1_PT2_15HIP_vector_typeIjLj3EESC_SC_jSC_SC_SC_SC_SC_SC_iiiiiiiiiiiDpT3_.has_recursion, 0
	.set _ZL19k_bin_bcast_unravelIXadL_ZL6op_addffEE6__halfffJPKfS2_S2_S2_S2_S2_S2_EEvPKT0_PKT1_PT2_15HIP_vector_typeIjLj3EESC_SC_jSC_SC_SC_SC_SC_SC_iiiiiiiiiiiDpT3_.has_indirect_call, 0
	.section	.AMDGPU.csdata,"",@progbits
; Kernel info:
; codeLenInByte = 840
; TotalNumSgprs: 32
; NumVgprs: 16
; ScratchSize: 0
; MemoryBound: 0
; FloatMode: 240
; IeeeMode: 1
; LDSByteSize: 0 bytes/workgroup (compile time only)
; SGPRBlocks: 3
; VGPRBlocks: 3
; NumSGPRsForWavesPerEU: 32
; NumVGPRsForWavesPerEU: 16
; Occupancy: 10
; WaveLimiterHint : 1
; COMPUTE_PGM_RSRC2:SCRATCH_EN: 0
; COMPUTE_PGM_RSRC2:USER_SGPR: 6
; COMPUTE_PGM_RSRC2:TRAP_HANDLER: 0
; COMPUTE_PGM_RSRC2:TGID_X_EN: 1
; COMPUTE_PGM_RSRC2:TGID_Y_EN: 0
; COMPUTE_PGM_RSRC2:TGID_Z_EN: 0
; COMPUTE_PGM_RSRC2:TIDIG_COMP_CNT: 0
	.section	.text._ZL11k_bin_bcastIXadL_ZL6op_addffEE6__halfffJPKfS2_S2_S2_S2_S2_S2_EEvPKT0_PKT1_PT2_iii15HIP_vector_typeIjLj3EESC_SC_SC_SC_iiiiiiiiiiiDpT3_,"axG",@progbits,_ZL11k_bin_bcastIXadL_ZL6op_addffEE6__halfffJPKfS2_S2_S2_S2_S2_S2_EEvPKT0_PKT1_PT2_iii15HIP_vector_typeIjLj3EESC_SC_SC_SC_iiiiiiiiiiiDpT3_,comdat
	.globl	_ZL11k_bin_bcastIXadL_ZL6op_addffEE6__halfffJPKfS2_S2_S2_S2_S2_S2_EEvPKT0_PKT1_PT2_iii15HIP_vector_typeIjLj3EESC_SC_SC_SC_iiiiiiiiiiiDpT3_ ; -- Begin function _ZL11k_bin_bcastIXadL_ZL6op_addffEE6__halfffJPKfS2_S2_S2_S2_S2_S2_EEvPKT0_PKT1_PT2_iii15HIP_vector_typeIjLj3EESC_SC_SC_SC_iiiiiiiiiiiDpT3_
	.p2align	8
	.type	_ZL11k_bin_bcastIXadL_ZL6op_addffEE6__halfffJPKfS2_S2_S2_S2_S2_S2_EEvPKT0_PKT1_PT2_iii15HIP_vector_typeIjLj3EESC_SC_SC_SC_iiiiiiiiiiiDpT3_,@function
_ZL11k_bin_bcastIXadL_ZL6op_addffEE6__halfffJPKfS2_S2_S2_S2_S2_S2_EEvPKT0_PKT1_PT2_iii15HIP_vector_typeIjLj3EESC_SC_SC_SC_iiiiiiiiiiiDpT3_: ; @_ZL11k_bin_bcastIXadL_ZL6op_addffEE6__halfffJPKfS2_S2_S2_S2_S2_S2_EEvPKT0_PKT1_PT2_iii15HIP_vector_typeIjLj3EESC_SC_SC_SC_iiiiiiiiiiiDpT3_
; %bb.0:
	s_load_dwordx2 s[0:1], s[4:5], 0xd4
	s_load_dwordx8 s[12:19], s[4:5], 0x18
	s_add_u32 s2, s4, 0xc8
	s_addc_u32 s3, s5, 0
	s_waitcnt lgkmcnt(0)
	s_and_b32 s1, s1, 0xffff
	s_mul_i32 s8, s8, s1
	v_add_u32_e32 v3, s8, v2
	v_mul_hi_u32 v2, v3, s15
	s_lshr_b32 s1, s0, 16
	s_and_b32 s8, s0, 0xffff
	s_mul_i32 s6, s6, s8
	v_add_u32_e32 v2, v3, v2
	v_lshrrev_b32_e32 v2, s16, v2
	v_mul_lo_u32 v4, v2, s17
	s_mul_i32 s7, s7, s1
	v_add_u32_e32 v0, s6, v0
	v_add_u32_e32 v1, s7, v1
	v_cmp_gt_u32_e32 vcc, s12, v0
	v_cmp_gt_u32_e64 s[0:1], s13, v1
	v_sub_u32_e32 v3, v3, v4
	s_and_b64 s[0:1], vcc, s[0:1]
	v_cmp_gt_u32_e32 vcc, s14, v2
	s_and_b64 s[0:1], s[0:1], vcc
	v_cmp_gt_u32_e32 vcc, s17, v3
	s_and_b64 s[0:1], s[0:1], vcc
	s_and_saveexec_b64 s[6:7], s[0:1]
	s_cbranch_execz .LBB87_6
; %bb.1:
	v_cmp_gt_i32_e32 vcc, s12, v0
	s_and_b64 exec, exec, vcc
	s_cbranch_execz .LBB87_6
; %bb.2:
	s_load_dwordx8 s[36:43], s[4:5], 0x3c
	s_load_dwordx8 s[20:27], s[4:5], 0x60
	s_load_dwordx4 s[28:31], s[4:5], 0x80
	s_load_dword s6, s[2:3], 0x0
	s_load_dword s0, s[4:5], 0x5c
	s_waitcnt lgkmcnt(0)
	v_mul_hi_u32 v4, s36, v1
	v_mul_hi_u32 v5, s39, v2
	;; [unrolled: 1-line block ×3, first 2 shown]
	v_mul_lo_u32 v7, v3, s26
	v_add_u32_e32 v4, v1, v4
	v_add_u32_e32 v5, v2, v5
	;; [unrolled: 1-line block ×3, first 2 shown]
	v_lshrrev_b32_e32 v4, s37, v4
	v_lshrrev_b32_e32 v5, s40, v5
	;; [unrolled: 1-line block ×3, first 2 shown]
	v_mul_lo_u32 v4, v4, s38
	v_mul_lo_u32 v5, v5, s41
	;; [unrolled: 1-line block ×5, first 2 shown]
	v_sub_u32_e32 v4, v1, v4
	v_sub_u32_e32 v5, v2, v5
	;; [unrolled: 1-line block ×3, first 2 shown]
	s_load_dword s9, s[4:5], 0x38
	s_load_dwordx2 s[0:1], s[4:5], 0x0
	s_load_dwordx2 s[2:3], s[4:5], 0x10
	v_mul_lo_u32 v6, v6, s30
	v_mul_lo_u32 v5, v5, s29
	;; [unrolled: 1-line block ×6, first 2 shown]
	v_add3_u32 v1, v8, v9, v7
	v_mov_b32_e32 v2, 0
	v_mov_b32_e32 v8, v2
	v_lshlrev_b64 v[1:2], 1, v[1:2]
	v_add3_u32 v4, v5, v6, v4
	v_add3_u32 v7, v10, v11, v3
	s_waitcnt lgkmcnt(0)
	v_mov_b32_e32 v3, s1
	v_add_co_u32_e32 v5, vcc, s0, v1
	v_addc_co_u32_e32 v6, vcc, v3, v2, vcc
	v_lshlrev_b64 v[1:2], 2, v[7:8]
	s_load_dwordx8 s[36:43], s[4:5], 0xb0
	s_load_dwordx8 s[44:51], s[4:5], 0x90
	v_mov_b32_e32 v3, s3
	v_add_co_u32_e32 v7, vcc, s2, v1
	v_addc_co_u32_e32 v8, vcc, v3, v2, vcc
	s_cmp_lg_u64 s[0:1], 0
	v_mul_lo_u32 v2, s23, v0
	s_cselect_b64 s[0:1], -1, 0
	s_mul_i32 s6, s6, s8
	v_cndmask_b32_e64 v1, 0, 1, s[0:1]
	s_mov_b64 s[4:5], 0
	s_mul_i32 s7, s6, s23
	s_sub_i32 s8, 0, s9
	v_cmp_ne_u32_e64 s[0:1], 1, v1
	s_waitcnt lgkmcnt(0)
	v_mov_b32_e32 v9, s45
	v_mov_b32_e32 v10, s47
	;; [unrolled: 1-line block ×7, first 2 shown]
	s_branch .LBB87_4
.LBB87_3:                               ;   in Loop: Header=BB87_4 Depth=1
	v_mul_hi_u32 v1, s18, v0
	v_add_u32_e32 v2, s7, v2
	v_add_u32_e32 v1, v0, v1
	v_lshrrev_b32_e32 v1, s19, v1
	v_mad_u64_u32 v[16:17], s[2:3], s8, v1, v[0:1]
	v_mul_lo_u32 v1, v16, s27
	v_add_co_u32_e32 v16, vcc, v1, v4
	v_addc_co_u32_e64 v17, s[2:3], 0, 0, vcc
	v_lshlrev_b64 v[16:17], 2, v[16:17]
	v_ashrrev_i32_e32 v1, 31, v0
	v_add_co_u32_e32 v18, vcc, s44, v16
	v_addc_co_u32_e32 v19, vcc, v9, v17, vcc
	v_add_co_u32_e32 v20, vcc, s46, v16
	v_addc_co_u32_e32 v21, vcc, v10, v17, vcc
	;; [unrolled: 2-line block ×7, first 2 shown]
	global_load_dword v30, v[18:19], off
	global_load_dword v31, v[20:21], off
	;; [unrolled: 1-line block ×3, first 2 shown]
                                        ; kill: killed $vgpr18 killed $vgpr19
                                        ; kill: killed $vgpr20 killed $vgpr21
                                        ; kill: killed $vgpr22 killed $vgpr23
	s_nop 0
	global_load_dword v18, v[24:25], off
	global_load_dword v19, v[26:27], off
	;; [unrolled: 1-line block ×4, first 2 shown]
	v_lshlrev_b64 v[16:17], 2, v[0:1]
	v_add_u32_e32 v0, s6, v0
	v_cmp_le_i32_e32 vcc, s12, v0
	v_add_co_u32_e64 v16, s[2:3], v7, v16
	v_addc_co_u32_e64 v17, s[2:3], v8, v17, s[2:3]
	s_or_b64 s[4:5], vcc, s[4:5]
	s_waitcnt vmcnt(6)
	v_add_f32_e32 v1, v3, v30
	s_waitcnt vmcnt(5)
	v_add_f32_e32 v1, v1, v31
	;; [unrolled: 2-line block ×7, first 2 shown]
	global_store_dword v[16:17], v1, off
	s_andn2_b64 exec, exec, s[4:5]
	s_cbranch_execz .LBB87_6
.LBB87_4:                               ; =>This Inner Loop Header: Depth=1
	s_and_b64 vcc, exec, s[0:1]
	v_mov_b32_e32 v3, 0
	s_cbranch_vccnz .LBB87_3
; %bb.5:                                ;   in Loop: Header=BB87_4 Depth=1
	v_ashrrev_i32_e32 v3, 31, v2
	v_lshlrev_b64 v[16:17], 1, v[2:3]
	v_add_co_u32_e32 v16, vcc, v5, v16
	v_addc_co_u32_e32 v17, vcc, v6, v17, vcc
	global_load_ushort v1, v[16:17], off
	s_waitcnt vmcnt(0)
	v_cvt_f32_f16_e32 v3, v1
	s_branch .LBB87_3
.LBB87_6:
	s_endpgm
	.section	.rodata,"a",@progbits
	.p2align	6, 0x0
	.amdhsa_kernel _ZL11k_bin_bcastIXadL_ZL6op_addffEE6__halfffJPKfS2_S2_S2_S2_S2_S2_EEvPKT0_PKT1_PT2_iii15HIP_vector_typeIjLj3EESC_SC_SC_SC_iiiiiiiiiiiDpT3_
		.amdhsa_group_segment_fixed_size 0
		.amdhsa_private_segment_fixed_size 0
		.amdhsa_kernarg_size 456
		.amdhsa_user_sgpr_count 6
		.amdhsa_user_sgpr_private_segment_buffer 1
		.amdhsa_user_sgpr_dispatch_ptr 0
		.amdhsa_user_sgpr_queue_ptr 0
		.amdhsa_user_sgpr_kernarg_segment_ptr 1
		.amdhsa_user_sgpr_dispatch_id 0
		.amdhsa_user_sgpr_flat_scratch_init 0
		.amdhsa_user_sgpr_private_segment_size 0
		.amdhsa_uses_dynamic_stack 0
		.amdhsa_system_sgpr_private_segment_wavefront_offset 0
		.amdhsa_system_sgpr_workgroup_id_x 1
		.amdhsa_system_sgpr_workgroup_id_y 1
		.amdhsa_system_sgpr_workgroup_id_z 1
		.amdhsa_system_sgpr_workgroup_info 0
		.amdhsa_system_vgpr_workitem_id 2
		.amdhsa_next_free_vgpr 33
		.amdhsa_next_free_sgpr 52
		.amdhsa_reserve_vcc 1
		.amdhsa_reserve_flat_scratch 0
		.amdhsa_float_round_mode_32 0
		.amdhsa_float_round_mode_16_64 0
		.amdhsa_float_denorm_mode_32 3
		.amdhsa_float_denorm_mode_16_64 3
		.amdhsa_dx10_clamp 1
		.amdhsa_ieee_mode 1
		.amdhsa_fp16_overflow 0
		.amdhsa_exception_fp_ieee_invalid_op 0
		.amdhsa_exception_fp_denorm_src 0
		.amdhsa_exception_fp_ieee_div_zero 0
		.amdhsa_exception_fp_ieee_overflow 0
		.amdhsa_exception_fp_ieee_underflow 0
		.amdhsa_exception_fp_ieee_inexact 0
		.amdhsa_exception_int_div_zero 0
	.end_amdhsa_kernel
	.section	.text._ZL11k_bin_bcastIXadL_ZL6op_addffEE6__halfffJPKfS2_S2_S2_S2_S2_S2_EEvPKT0_PKT1_PT2_iii15HIP_vector_typeIjLj3EESC_SC_SC_SC_iiiiiiiiiiiDpT3_,"axG",@progbits,_ZL11k_bin_bcastIXadL_ZL6op_addffEE6__halfffJPKfS2_S2_S2_S2_S2_S2_EEvPKT0_PKT1_PT2_iii15HIP_vector_typeIjLj3EESC_SC_SC_SC_iiiiiiiiiiiDpT3_,comdat
.Lfunc_end87:
	.size	_ZL11k_bin_bcastIXadL_ZL6op_addffEE6__halfffJPKfS2_S2_S2_S2_S2_S2_EEvPKT0_PKT1_PT2_iii15HIP_vector_typeIjLj3EESC_SC_SC_SC_iiiiiiiiiiiDpT3_, .Lfunc_end87-_ZL11k_bin_bcastIXadL_ZL6op_addffEE6__halfffJPKfS2_S2_S2_S2_S2_S2_EEvPKT0_PKT1_PT2_iii15HIP_vector_typeIjLj3EESC_SC_SC_SC_iiiiiiiiiiiDpT3_
                                        ; -- End function
	.set _ZL11k_bin_bcastIXadL_ZL6op_addffEE6__halfffJPKfS2_S2_S2_S2_S2_S2_EEvPKT0_PKT1_PT2_iii15HIP_vector_typeIjLj3EESC_SC_SC_SC_iiiiiiiiiiiDpT3_.num_vgpr, 33
	.set _ZL11k_bin_bcastIXadL_ZL6op_addffEE6__halfffJPKfS2_S2_S2_S2_S2_S2_EEvPKT0_PKT1_PT2_iii15HIP_vector_typeIjLj3EESC_SC_SC_SC_iiiiiiiiiiiDpT3_.num_agpr, 0
	.set _ZL11k_bin_bcastIXadL_ZL6op_addffEE6__halfffJPKfS2_S2_S2_S2_S2_S2_EEvPKT0_PKT1_PT2_iii15HIP_vector_typeIjLj3EESC_SC_SC_SC_iiiiiiiiiiiDpT3_.numbered_sgpr, 52
	.set _ZL11k_bin_bcastIXadL_ZL6op_addffEE6__halfffJPKfS2_S2_S2_S2_S2_S2_EEvPKT0_PKT1_PT2_iii15HIP_vector_typeIjLj3EESC_SC_SC_SC_iiiiiiiiiiiDpT3_.num_named_barrier, 0
	.set _ZL11k_bin_bcastIXadL_ZL6op_addffEE6__halfffJPKfS2_S2_S2_S2_S2_S2_EEvPKT0_PKT1_PT2_iii15HIP_vector_typeIjLj3EESC_SC_SC_SC_iiiiiiiiiiiDpT3_.private_seg_size, 0
	.set _ZL11k_bin_bcastIXadL_ZL6op_addffEE6__halfffJPKfS2_S2_S2_S2_S2_S2_EEvPKT0_PKT1_PT2_iii15HIP_vector_typeIjLj3EESC_SC_SC_SC_iiiiiiiiiiiDpT3_.uses_vcc, 1
	.set _ZL11k_bin_bcastIXadL_ZL6op_addffEE6__halfffJPKfS2_S2_S2_S2_S2_S2_EEvPKT0_PKT1_PT2_iii15HIP_vector_typeIjLj3EESC_SC_SC_SC_iiiiiiiiiiiDpT3_.uses_flat_scratch, 0
	.set _ZL11k_bin_bcastIXadL_ZL6op_addffEE6__halfffJPKfS2_S2_S2_S2_S2_S2_EEvPKT0_PKT1_PT2_iii15HIP_vector_typeIjLj3EESC_SC_SC_SC_iiiiiiiiiiiDpT3_.has_dyn_sized_stack, 0
	.set _ZL11k_bin_bcastIXadL_ZL6op_addffEE6__halfffJPKfS2_S2_S2_S2_S2_S2_EEvPKT0_PKT1_PT2_iii15HIP_vector_typeIjLj3EESC_SC_SC_SC_iiiiiiiiiiiDpT3_.has_recursion, 0
	.set _ZL11k_bin_bcastIXadL_ZL6op_addffEE6__halfffJPKfS2_S2_S2_S2_S2_S2_EEvPKT0_PKT1_PT2_iii15HIP_vector_typeIjLj3EESC_SC_SC_SC_iiiiiiiiiiiDpT3_.has_indirect_call, 0
	.section	.AMDGPU.csdata,"",@progbits
; Kernel info:
; codeLenInByte = 896
; TotalNumSgprs: 56
; NumVgprs: 33
; ScratchSize: 0
; MemoryBound: 0
; FloatMode: 240
; IeeeMode: 1
; LDSByteSize: 0 bytes/workgroup (compile time only)
; SGPRBlocks: 6
; VGPRBlocks: 8
; NumSGPRsForWavesPerEU: 56
; NumVGPRsForWavesPerEU: 33
; Occupancy: 7
; WaveLimiterHint : 1
; COMPUTE_PGM_RSRC2:SCRATCH_EN: 0
; COMPUTE_PGM_RSRC2:USER_SGPR: 6
; COMPUTE_PGM_RSRC2:TRAP_HANDLER: 0
; COMPUTE_PGM_RSRC2:TGID_X_EN: 1
; COMPUTE_PGM_RSRC2:TGID_Y_EN: 1
; COMPUTE_PGM_RSRC2:TGID_Z_EN: 1
; COMPUTE_PGM_RSRC2:TIDIG_COMP_CNT: 2
	.section	.text._ZL19k_bin_bcast_unravelIXadL_ZL6op_addffEEfffJPKfS1_S1_S1_S1_S1_S1_S1_EEvPKT0_PKT1_PT2_15HIP_vector_typeIjLj3EESB_SB_jSB_SB_SB_SB_SB_SB_iiiiiiiiiiiDpT3_,"axG",@progbits,_ZL19k_bin_bcast_unravelIXadL_ZL6op_addffEEfffJPKfS1_S1_S1_S1_S1_S1_S1_EEvPKT0_PKT1_PT2_15HIP_vector_typeIjLj3EESB_SB_jSB_SB_SB_SB_SB_SB_iiiiiiiiiiiDpT3_,comdat
	.globl	_ZL19k_bin_bcast_unravelIXadL_ZL6op_addffEEfffJPKfS1_S1_S1_S1_S1_S1_S1_EEvPKT0_PKT1_PT2_15HIP_vector_typeIjLj3EESB_SB_jSB_SB_SB_SB_SB_SB_iiiiiiiiiiiDpT3_ ; -- Begin function _ZL19k_bin_bcast_unravelIXadL_ZL6op_addffEEfffJPKfS1_S1_S1_S1_S1_S1_S1_EEvPKT0_PKT1_PT2_15HIP_vector_typeIjLj3EESB_SB_jSB_SB_SB_SB_SB_SB_iiiiiiiiiiiDpT3_
	.p2align	8
	.type	_ZL19k_bin_bcast_unravelIXadL_ZL6op_addffEEfffJPKfS1_S1_S1_S1_S1_S1_S1_EEvPKT0_PKT1_PT2_15HIP_vector_typeIjLj3EESB_SB_jSB_SB_SB_SB_SB_SB_iiiiiiiiiiiDpT3_,@function
_ZL19k_bin_bcast_unravelIXadL_ZL6op_addffEEfffJPKfS1_S1_S1_S1_S1_S1_S1_EEvPKT0_PKT1_PT2_15HIP_vector_typeIjLj3EESB_SB_jSB_SB_SB_SB_SB_SB_iiiiiiiiiiiDpT3_: ; @_ZL19k_bin_bcast_unravelIXadL_ZL6op_addffEEfffJPKfS1_S1_S1_S1_S1_S1_S1_EEvPKT0_PKT1_PT2_15HIP_vector_typeIjLj3EESB_SB_jSB_SB_SB_SB_SB_SB_iiiiiiiiiiiDpT3_
; %bb.0:
	s_load_dword s0, s[4:5], 0x104
	s_load_dwordx8 s[8:15], s[4:5], 0x38
	s_waitcnt lgkmcnt(0)
	s_and_b32 s0, s0, 0xffff
	s_mul_i32 s6, s6, s0
	v_add_u32_e32 v0, s6, v0
	v_mul_hi_u32 v1, v0, s10
	s_load_dwordx4 s[0:3], s[4:5], 0x18
	s_waitcnt lgkmcnt(0)
	s_load_dword s3, s[4:5], 0x2c
	v_add_u32_e32 v1, v0, v1
	v_lshrrev_b32_e32 v1, s11, v1
	v_mul_lo_u32 v2, v1, s12
	v_sub_u32_e32 v0, v0, v2
	v_mul_hi_u32 v2, v0, s13
	v_add_u32_e32 v2, v0, v2
	v_lshrrev_b32_e32 v3, s14, v2
	v_mul_lo_u32 v2, v3, s15
	v_cmp_gt_u32_e32 vcc, s8, v3
	v_sub_u32_e32 v0, v0, v2
	v_mul_hi_u32 v2, v0, s0
	v_add_u32_e32 v2, v0, v2
	v_lshrrev_b32_e32 v4, s1, v2
	v_mul_lo_u32 v2, v4, s2
	s_waitcnt lgkmcnt(0)
	v_cmp_gt_u32_e64 s[0:1], s3, v4
	v_sub_u32_e32 v0, v0, v2
	v_cmp_gt_u32_e64 s[2:3], s2, v0
	s_and_b64 s[0:1], s[2:3], s[0:1]
	s_and_b64 s[0:1], s[0:1], vcc
	v_cmp_gt_u32_e32 vcc, s9, v1
	s_and_b64 s[0:1], vcc, s[0:1]
	s_and_saveexec_b64 s[2:3], s[0:1]
	s_cbranch_execz .LBB88_4
; %bb.1:
	s_load_dwordx2 s[6:7], s[4:5], 0x0
	s_load_dwordx4 s[0:3], s[4:5], 0xa8
	s_load_dwordx8 s[24:31], s[4:5], 0x88
	s_load_dwordx4 s[16:19], s[4:5], 0x78
	s_load_dwordx8 s[8:15], s[4:5], 0x58
	v_mov_b32_e32 v2, 0
	s_waitcnt lgkmcnt(0)
	s_cmp_eq_u64 s[6:7], 0
	v_mov_b32_e32 v5, 0
	s_cbranch_scc1 .LBB88_3
; %bb.2:
	v_mul_lo_u32 v5, v1, s30
	v_mul_lo_u32 v7, v3, s29
	;; [unrolled: 1-line block ×3, first 2 shown]
	v_mov_b32_e32 v6, 0
	v_mov_b32_e32 v9, s7
	v_add3_u32 v5, v7, v5, v8
	v_lshlrev_b64 v[7:8], 2, v[5:6]
	v_mul_lo_u32 v5, v0, s27
	v_add_co_u32_e32 v7, vcc, s6, v7
	v_addc_co_u32_e32 v8, vcc, v9, v8, vcc
	v_lshlrev_b64 v[5:6], 2, v[5:6]
	v_add_co_u32_e32 v5, vcc, v7, v5
	v_addc_co_u32_e32 v6, vcc, v8, v6, vcc
	global_load_dword v5, v[5:6], off
.LBB88_3:
	v_mul_hi_u32 v6, s11, v4
	v_mul_hi_u32 v7, s14, v3
	;; [unrolled: 1-line block ×4, first 2 shown]
	v_add_u32_e32 v6, v4, v6
	v_add_u32_e32 v7, v3, v7
	;; [unrolled: 1-line block ×3, first 2 shown]
	v_lshrrev_b32_e32 v6, s12, v6
	v_lshrrev_b32_e32 v7, s15, v7
	;; [unrolled: 1-line block ×3, first 2 shown]
	v_add_u32_e32 v9, v0, v9
	v_mul_lo_u32 v6, v6, s13
	v_mul_lo_u32 v7, v7, s16
	;; [unrolled: 1-line block ×3, first 2 shown]
	v_lshrrev_b32_e32 v9, s9, v9
	v_mul_lo_u32 v9, v9, s10
	v_sub_u32_e32 v6, v4, v6
	v_sub_u32_e32 v7, v3, v7
	;; [unrolled: 1-line block ×3, first 2 shown]
	v_mul_lo_u32 v8, v8, s2
	v_mul_lo_u32 v7, v7, s1
	;; [unrolled: 1-line block ×3, first 2 shown]
	v_sub_u32_e32 v9, v0, v9
	v_mul_lo_u32 v9, v9, s31
	s_load_dwordx16 s[8:23], s[4:5], 0xb8
	v_add3_u32 v6, v7, v8, v6
	v_ashrrev_i32_e32 v7, 31, v6
	v_ashrrev_i32_e32 v8, 31, v9
	v_add_co_u32_e32 v6, vcc, v9, v6
	v_addc_co_u32_e32 v7, vcc, v8, v7, vcc
	v_lshlrev_b64 v[6:7], 2, v[6:7]
	s_waitcnt lgkmcnt(0)
	v_mov_b32_e32 v9, s9
	v_add_co_u32_e32 v8, vcc, s8, v6
	v_addc_co_u32_e32 v9, vcc, v9, v7, vcc
	global_load_dword v10, v[8:9], off
	v_mov_b32_e32 v9, s11
	v_add_co_u32_e32 v8, vcc, s10, v6
	v_addc_co_u32_e32 v9, vcc, v9, v7, vcc
	global_load_dword v11, v[8:9], off
	;; [unrolled: 4-line block ×8, first 2 shown]
	v_mul_lo_u32 v7, v1, s26
	v_mul_lo_u32 v9, v3, s25
	;; [unrolled: 1-line block ×3, first 2 shown]
	s_load_dwordx2 s[0:1], s[4:5], 0x10
	v_mov_b32_e32 v1, v2
	v_lshlrev_b64 v[3:4], 2, v[0:1]
	v_add3_u32 v1, v9, v7, v16
	v_lshlrev_b64 v[0:1], 2, v[1:2]
	s_waitcnt lgkmcnt(0)
	v_mov_b32_e32 v2, s1
	v_add_co_u32_e32 v0, vcc, s0, v0
	v_addc_co_u32_e32 v1, vcc, v2, v1, vcc
	v_add_co_u32_e32 v0, vcc, v0, v3
	v_addc_co_u32_e32 v1, vcc, v1, v4, vcc
	s_waitcnt vmcnt(7)
	v_add_f32_e32 v2, v5, v10
	s_waitcnt vmcnt(6)
	v_add_f32_e32 v2, v2, v11
	;; [unrolled: 2-line block ×8, first 2 shown]
	global_store_dword v[0:1], v2, off
.LBB88_4:
	s_endpgm
	.section	.rodata,"a",@progbits
	.p2align	6, 0x0
	.amdhsa_kernel _ZL19k_bin_bcast_unravelIXadL_ZL6op_addffEEfffJPKfS1_S1_S1_S1_S1_S1_S1_EEvPKT0_PKT1_PT2_15HIP_vector_typeIjLj3EESB_SB_jSB_SB_SB_SB_SB_SB_iiiiiiiiiiiDpT3_
		.amdhsa_group_segment_fixed_size 0
		.amdhsa_private_segment_fixed_size 0
		.amdhsa_kernarg_size 504
		.amdhsa_user_sgpr_count 6
		.amdhsa_user_sgpr_private_segment_buffer 1
		.amdhsa_user_sgpr_dispatch_ptr 0
		.amdhsa_user_sgpr_queue_ptr 0
		.amdhsa_user_sgpr_kernarg_segment_ptr 1
		.amdhsa_user_sgpr_dispatch_id 0
		.amdhsa_user_sgpr_flat_scratch_init 0
		.amdhsa_user_sgpr_private_segment_size 0
		.amdhsa_uses_dynamic_stack 0
		.amdhsa_system_sgpr_private_segment_wavefront_offset 0
		.amdhsa_system_sgpr_workgroup_id_x 1
		.amdhsa_system_sgpr_workgroup_id_y 0
		.amdhsa_system_sgpr_workgroup_id_z 0
		.amdhsa_system_sgpr_workgroup_info 0
		.amdhsa_system_vgpr_workitem_id 0
		.amdhsa_next_free_vgpr 17
		.amdhsa_next_free_sgpr 32
		.amdhsa_reserve_vcc 1
		.amdhsa_reserve_flat_scratch 0
		.amdhsa_float_round_mode_32 0
		.amdhsa_float_round_mode_16_64 0
		.amdhsa_float_denorm_mode_32 3
		.amdhsa_float_denorm_mode_16_64 3
		.amdhsa_dx10_clamp 1
		.amdhsa_ieee_mode 1
		.amdhsa_fp16_overflow 0
		.amdhsa_exception_fp_ieee_invalid_op 0
		.amdhsa_exception_fp_denorm_src 0
		.amdhsa_exception_fp_ieee_div_zero 0
		.amdhsa_exception_fp_ieee_overflow 0
		.amdhsa_exception_fp_ieee_underflow 0
		.amdhsa_exception_fp_ieee_inexact 0
		.amdhsa_exception_int_div_zero 0
	.end_amdhsa_kernel
	.section	.text._ZL19k_bin_bcast_unravelIXadL_ZL6op_addffEEfffJPKfS1_S1_S1_S1_S1_S1_S1_EEvPKT0_PKT1_PT2_15HIP_vector_typeIjLj3EESB_SB_jSB_SB_SB_SB_SB_SB_iiiiiiiiiiiDpT3_,"axG",@progbits,_ZL19k_bin_bcast_unravelIXadL_ZL6op_addffEEfffJPKfS1_S1_S1_S1_S1_S1_S1_EEvPKT0_PKT1_PT2_15HIP_vector_typeIjLj3EESB_SB_jSB_SB_SB_SB_SB_SB_iiiiiiiiiiiDpT3_,comdat
.Lfunc_end88:
	.size	_ZL19k_bin_bcast_unravelIXadL_ZL6op_addffEEfffJPKfS1_S1_S1_S1_S1_S1_S1_EEvPKT0_PKT1_PT2_15HIP_vector_typeIjLj3EESB_SB_jSB_SB_SB_SB_SB_SB_iiiiiiiiiiiDpT3_, .Lfunc_end88-_ZL19k_bin_bcast_unravelIXadL_ZL6op_addffEEfffJPKfS1_S1_S1_S1_S1_S1_S1_EEvPKT0_PKT1_PT2_15HIP_vector_typeIjLj3EESB_SB_jSB_SB_SB_SB_SB_SB_iiiiiiiiiiiDpT3_
                                        ; -- End function
	.set _ZL19k_bin_bcast_unravelIXadL_ZL6op_addffEEfffJPKfS1_S1_S1_S1_S1_S1_S1_EEvPKT0_PKT1_PT2_15HIP_vector_typeIjLj3EESB_SB_jSB_SB_SB_SB_SB_SB_iiiiiiiiiiiDpT3_.num_vgpr, 17
	.set _ZL19k_bin_bcast_unravelIXadL_ZL6op_addffEEfffJPKfS1_S1_S1_S1_S1_S1_S1_EEvPKT0_PKT1_PT2_15HIP_vector_typeIjLj3EESB_SB_jSB_SB_SB_SB_SB_SB_iiiiiiiiiiiDpT3_.num_agpr, 0
	.set _ZL19k_bin_bcast_unravelIXadL_ZL6op_addffEEfffJPKfS1_S1_S1_S1_S1_S1_S1_EEvPKT0_PKT1_PT2_15HIP_vector_typeIjLj3EESB_SB_jSB_SB_SB_SB_SB_SB_iiiiiiiiiiiDpT3_.numbered_sgpr, 32
	.set _ZL19k_bin_bcast_unravelIXadL_ZL6op_addffEEfffJPKfS1_S1_S1_S1_S1_S1_S1_EEvPKT0_PKT1_PT2_15HIP_vector_typeIjLj3EESB_SB_jSB_SB_SB_SB_SB_SB_iiiiiiiiiiiDpT3_.num_named_barrier, 0
	.set _ZL19k_bin_bcast_unravelIXadL_ZL6op_addffEEfffJPKfS1_S1_S1_S1_S1_S1_S1_EEvPKT0_PKT1_PT2_15HIP_vector_typeIjLj3EESB_SB_jSB_SB_SB_SB_SB_SB_iiiiiiiiiiiDpT3_.private_seg_size, 0
	.set _ZL19k_bin_bcast_unravelIXadL_ZL6op_addffEEfffJPKfS1_S1_S1_S1_S1_S1_S1_EEvPKT0_PKT1_PT2_15HIP_vector_typeIjLj3EESB_SB_jSB_SB_SB_SB_SB_SB_iiiiiiiiiiiDpT3_.uses_vcc, 1
	.set _ZL19k_bin_bcast_unravelIXadL_ZL6op_addffEEfffJPKfS1_S1_S1_S1_S1_S1_S1_EEvPKT0_PKT1_PT2_15HIP_vector_typeIjLj3EESB_SB_jSB_SB_SB_SB_SB_SB_iiiiiiiiiiiDpT3_.uses_flat_scratch, 0
	.set _ZL19k_bin_bcast_unravelIXadL_ZL6op_addffEEfffJPKfS1_S1_S1_S1_S1_S1_S1_EEvPKT0_PKT1_PT2_15HIP_vector_typeIjLj3EESB_SB_jSB_SB_SB_SB_SB_SB_iiiiiiiiiiiDpT3_.has_dyn_sized_stack, 0
	.set _ZL19k_bin_bcast_unravelIXadL_ZL6op_addffEEfffJPKfS1_S1_S1_S1_S1_S1_S1_EEvPKT0_PKT1_PT2_15HIP_vector_typeIjLj3EESB_SB_jSB_SB_SB_SB_SB_SB_iiiiiiiiiiiDpT3_.has_recursion, 0
	.set _ZL19k_bin_bcast_unravelIXadL_ZL6op_addffEEfffJPKfS1_S1_S1_S1_S1_S1_S1_EEvPKT0_PKT1_PT2_15HIP_vector_typeIjLj3EESB_SB_jSB_SB_SB_SB_SB_SB_iiiiiiiiiiiDpT3_.has_indirect_call, 0
	.section	.AMDGPU.csdata,"",@progbits
; Kernel info:
; codeLenInByte = 844
; TotalNumSgprs: 36
; NumVgprs: 17
; ScratchSize: 0
; MemoryBound: 0
; FloatMode: 240
; IeeeMode: 1
; LDSByteSize: 0 bytes/workgroup (compile time only)
; SGPRBlocks: 4
; VGPRBlocks: 4
; NumSGPRsForWavesPerEU: 36
; NumVGPRsForWavesPerEU: 17
; Occupancy: 10
; WaveLimiterHint : 1
; COMPUTE_PGM_RSRC2:SCRATCH_EN: 0
; COMPUTE_PGM_RSRC2:USER_SGPR: 6
; COMPUTE_PGM_RSRC2:TRAP_HANDLER: 0
; COMPUTE_PGM_RSRC2:TGID_X_EN: 1
; COMPUTE_PGM_RSRC2:TGID_Y_EN: 0
; COMPUTE_PGM_RSRC2:TGID_Z_EN: 0
; COMPUTE_PGM_RSRC2:TIDIG_COMP_CNT: 0
	.section	.text._ZL11k_bin_bcastIXadL_ZL6op_addffEEfffJPKfS1_S1_S1_S1_S1_S1_S1_EEvPKT0_PKT1_PT2_iii15HIP_vector_typeIjLj3EESB_SB_SB_SB_iiiiiiiiiiiDpT3_,"axG",@progbits,_ZL11k_bin_bcastIXadL_ZL6op_addffEEfffJPKfS1_S1_S1_S1_S1_S1_S1_EEvPKT0_PKT1_PT2_iii15HIP_vector_typeIjLj3EESB_SB_SB_SB_iiiiiiiiiiiDpT3_,comdat
	.globl	_ZL11k_bin_bcastIXadL_ZL6op_addffEEfffJPKfS1_S1_S1_S1_S1_S1_S1_EEvPKT0_PKT1_PT2_iii15HIP_vector_typeIjLj3EESB_SB_SB_SB_iiiiiiiiiiiDpT3_ ; -- Begin function _ZL11k_bin_bcastIXadL_ZL6op_addffEEfffJPKfS1_S1_S1_S1_S1_S1_S1_EEvPKT0_PKT1_PT2_iii15HIP_vector_typeIjLj3EESB_SB_SB_SB_iiiiiiiiiiiDpT3_
	.p2align	8
	.type	_ZL11k_bin_bcastIXadL_ZL6op_addffEEfffJPKfS1_S1_S1_S1_S1_S1_S1_EEvPKT0_PKT1_PT2_iii15HIP_vector_typeIjLj3EESB_SB_SB_SB_iiiiiiiiiiiDpT3_,@function
_ZL11k_bin_bcastIXadL_ZL6op_addffEEfffJPKfS1_S1_S1_S1_S1_S1_S1_EEvPKT0_PKT1_PT2_iii15HIP_vector_typeIjLj3EESB_SB_SB_SB_iiiiiiiiiiiDpT3_: ; @_ZL11k_bin_bcastIXadL_ZL6op_addffEEfffJPKfS1_S1_S1_S1_S1_S1_S1_EEvPKT0_PKT1_PT2_iii15HIP_vector_typeIjLj3EESB_SB_SB_SB_iiiiiiiiiiiDpT3_
; %bb.0:
	s_load_dwordx2 s[0:1], s[4:5], 0xdc
	s_load_dwordx8 s[24:31], s[4:5], 0x18
	s_add_u32 s2, s4, 0xd0
	s_addc_u32 s3, s5, 0
	s_waitcnt lgkmcnt(0)
	s_and_b32 s1, s1, 0xffff
	s_mul_i32 s8, s8, s1
	v_add_u32_e32 v3, s8, v2
	v_mul_hi_u32 v2, v3, s27
	s_lshr_b32 s1, s0, 16
	s_and_b32 s27, s0, 0xffff
	s_mul_i32 s6, s6, s27
	v_add_u32_e32 v2, v3, v2
	v_lshrrev_b32_e32 v2, s28, v2
	v_mul_lo_u32 v4, v2, s29
	s_mul_i32 s7, s7, s1
	v_add_u32_e32 v0, s6, v0
	v_add_u32_e32 v1, s7, v1
	v_cmp_gt_u32_e32 vcc, s24, v0
	v_cmp_gt_u32_e64 s[0:1], s25, v1
	v_sub_u32_e32 v3, v3, v4
	s_and_b64 s[0:1], vcc, s[0:1]
	v_cmp_gt_u32_e32 vcc, s26, v2
	s_and_b64 s[0:1], s[0:1], vcc
	v_cmp_gt_u32_e32 vcc, s29, v3
	s_and_b64 s[0:1], s[0:1], vcc
	s_and_saveexec_b64 s[6:7], s[0:1]
	s_cbranch_execz .LBB89_6
; %bb.1:
	v_cmp_gt_i32_e32 vcc, s24, v0
	s_and_b64 exec, exec, vcc
	s_cbranch_execz .LBB89_6
; %bb.2:
	s_load_dwordx8 s[8:15], s[4:5], 0x3c
	s_load_dwordx8 s[36:43], s[4:5], 0x60
	s_load_dwordx4 s[16:19], s[4:5], 0x80
	s_load_dword s6, s[2:3], 0x0
	s_load_dword s0, s[4:5], 0x5c
	s_waitcnt lgkmcnt(0)
	v_mul_hi_u32 v4, s8, v1
	v_mul_hi_u32 v5, s11, v2
	;; [unrolled: 1-line block ×3, first 2 shown]
	v_mul_lo_u32 v7, v3, s42
	v_add_u32_e32 v4, v1, v4
	v_add_u32_e32 v5, v2, v5
	;; [unrolled: 1-line block ×3, first 2 shown]
	v_lshrrev_b32_e32 v4, s9, v4
	v_lshrrev_b32_e32 v5, s12, v5
	;; [unrolled: 1-line block ×3, first 2 shown]
	v_mul_lo_u32 v4, v4, s10
	v_mul_lo_u32 v5, v5, s13
	;; [unrolled: 1-line block ×5, first 2 shown]
	v_sub_u32_e32 v4, v1, v4
	v_sub_u32_e32 v5, v2, v5
	;; [unrolled: 1-line block ×3, first 2 shown]
	s_load_dword s25, s[4:5], 0x38
	s_load_dwordx2 s[0:1], s[4:5], 0x0
	s_load_dwordx2 s[2:3], s[4:5], 0x10
	v_mul_lo_u32 v6, v6, s18
	v_mul_lo_u32 v5, v5, s17
	;; [unrolled: 1-line block ×6, first 2 shown]
	v_add3_u32 v1, v8, v9, v7
	v_mov_b32_e32 v2, 0
	v_mov_b32_e32 v8, v2
	v_lshlrev_b64 v[1:2], 2, v[1:2]
	v_add3_u32 v4, v5, v6, v4
	v_add3_u32 v7, v10, v11, v3
	s_waitcnt lgkmcnt(0)
	v_mov_b32_e32 v3, s1
	v_add_co_u32_e32 v5, vcc, s0, v1
	v_addc_co_u32_e32 v6, vcc, v3, v2, vcc
	v_lshlrev_b64 v[1:2], 2, v[7:8]
	s_load_dwordx16 s[8:23], s[4:5], 0x90
	v_mov_b32_e32 v3, s3
	v_add_co_u32_e32 v7, vcc, s2, v1
	v_addc_co_u32_e32 v8, vcc, v3, v2, vcc
	s_cmp_lg_u64 s[0:1], 0
	v_mul_lo_u32 v2, s39, v0
	s_cselect_b64 s[0:1], -1, 0
	s_mul_i32 s6, s6, s27
	v_cndmask_b32_e64 v1, 0, 1, s[0:1]
	s_mov_b64 s[4:5], 0
	s_mul_i32 s7, s6, s39
	s_sub_i32 s25, 0, s25
	s_waitcnt lgkmcnt(0)
	v_mov_b32_e32 v9, s9
	v_mov_b32_e32 v10, s11
	v_mov_b32_e32 v11, s13
	v_mov_b32_e32 v12, s15
	v_cmp_ne_u32_e64 s[0:1], 1, v1
	v_mov_b32_e32 v13, s17
	v_mov_b32_e32 v14, s19
	;; [unrolled: 1-line block ×4, first 2 shown]
	s_branch .LBB89_4
.LBB89_3:                               ;   in Loop: Header=BB89_4 Depth=1
	v_mul_hi_u32 v1, s30, v0
	v_add_u32_e32 v2, s7, v2
	v_add_u32_e32 v1, v0, v1
	v_lshrrev_b32_e32 v1, s31, v1
	v_mad_u64_u32 v[17:18], s[2:3], s25, v1, v[0:1]
	v_mul_lo_u32 v1, v17, s43
	v_add_co_u32_e32 v17, vcc, v1, v4
	v_addc_co_u32_e64 v18, s[2:3], 0, 0, vcc
	v_lshlrev_b64 v[17:18], 2, v[17:18]
	v_ashrrev_i32_e32 v1, 31, v0
	v_add_co_u32_e32 v19, vcc, s8, v17
	v_addc_co_u32_e32 v20, vcc, v9, v18, vcc
	v_add_co_u32_e32 v21, vcc, s10, v17
	v_addc_co_u32_e32 v22, vcc, v10, v18, vcc
	;; [unrolled: 2-line block ×8, first 2 shown]
	global_load_dword v19, v[19:20], off
	s_nop 0
	global_load_dword v20, v[21:22], off
	s_nop 0
	global_load_dword v21, v[23:24], off
	global_load_dword v22, v[25:26], off
                                        ; kill: killed $vgpr25 killed $vgpr26
                                        ; kill: killed $vgpr23 killed $vgpr24
	s_nop 0
	global_load_dword v23, v[27:28], off
	global_load_dword v24, v[29:30], off
	;; [unrolled: 1-line block ×4, first 2 shown]
	v_lshlrev_b64 v[17:18], 2, v[0:1]
	v_add_u32_e32 v0, s6, v0
	v_cmp_le_i32_e32 vcc, s24, v0
	v_add_co_u32_e64 v17, s[2:3], v7, v17
	v_addc_co_u32_e64 v18, s[2:3], v8, v18, s[2:3]
	s_or_b64 s[4:5], vcc, s[4:5]
	s_waitcnt vmcnt(7)
	v_add_f32_e32 v1, v3, v19
	s_waitcnt vmcnt(6)
	v_add_f32_e32 v1, v1, v20
	;; [unrolled: 2-line block ×8, first 2 shown]
	global_store_dword v[17:18], v1, off
	s_andn2_b64 exec, exec, s[4:5]
	s_cbranch_execz .LBB89_6
.LBB89_4:                               ; =>This Inner Loop Header: Depth=1
	s_and_b64 vcc, exec, s[0:1]
	v_mov_b32_e32 v3, 0
	s_cbranch_vccnz .LBB89_3
; %bb.5:                                ;   in Loop: Header=BB89_4 Depth=1
	v_ashrrev_i32_e32 v3, 31, v2
	v_lshlrev_b64 v[17:18], 2, v[2:3]
	v_add_co_u32_e32 v17, vcc, v5, v17
	v_addc_co_u32_e32 v18, vcc, v6, v18, vcc
	global_load_dword v3, v[17:18], off
	s_branch .LBB89_3
.LBB89_6:
	s_endpgm
	.section	.rodata,"a",@progbits
	.p2align	6, 0x0
	.amdhsa_kernel _ZL11k_bin_bcastIXadL_ZL6op_addffEEfffJPKfS1_S1_S1_S1_S1_S1_S1_EEvPKT0_PKT1_PT2_iii15HIP_vector_typeIjLj3EESB_SB_SB_SB_iiiiiiiiiiiDpT3_
		.amdhsa_group_segment_fixed_size 0
		.amdhsa_private_segment_fixed_size 0
		.amdhsa_kernarg_size 464
		.amdhsa_user_sgpr_count 6
		.amdhsa_user_sgpr_private_segment_buffer 1
		.amdhsa_user_sgpr_dispatch_ptr 0
		.amdhsa_user_sgpr_queue_ptr 0
		.amdhsa_user_sgpr_kernarg_segment_ptr 1
		.amdhsa_user_sgpr_dispatch_id 0
		.amdhsa_user_sgpr_flat_scratch_init 0
		.amdhsa_user_sgpr_private_segment_size 0
		.amdhsa_uses_dynamic_stack 0
		.amdhsa_system_sgpr_private_segment_wavefront_offset 0
		.amdhsa_system_sgpr_workgroup_id_x 1
		.amdhsa_system_sgpr_workgroup_id_y 1
		.amdhsa_system_sgpr_workgroup_id_z 1
		.amdhsa_system_sgpr_workgroup_info 0
		.amdhsa_system_vgpr_workitem_id 2
		.amdhsa_next_free_vgpr 33
		.amdhsa_next_free_sgpr 44
		.amdhsa_reserve_vcc 1
		.amdhsa_reserve_flat_scratch 0
		.amdhsa_float_round_mode_32 0
		.amdhsa_float_round_mode_16_64 0
		.amdhsa_float_denorm_mode_32 3
		.amdhsa_float_denorm_mode_16_64 3
		.amdhsa_dx10_clamp 1
		.amdhsa_ieee_mode 1
		.amdhsa_fp16_overflow 0
		.amdhsa_exception_fp_ieee_invalid_op 0
		.amdhsa_exception_fp_denorm_src 0
		.amdhsa_exception_fp_ieee_div_zero 0
		.amdhsa_exception_fp_ieee_overflow 0
		.amdhsa_exception_fp_ieee_underflow 0
		.amdhsa_exception_fp_ieee_inexact 0
		.amdhsa_exception_int_div_zero 0
	.end_amdhsa_kernel
	.section	.text._ZL11k_bin_bcastIXadL_ZL6op_addffEEfffJPKfS1_S1_S1_S1_S1_S1_S1_EEvPKT0_PKT1_PT2_iii15HIP_vector_typeIjLj3EESB_SB_SB_SB_iiiiiiiiiiiDpT3_,"axG",@progbits,_ZL11k_bin_bcastIXadL_ZL6op_addffEEfffJPKfS1_S1_S1_S1_S1_S1_S1_EEvPKT0_PKT1_PT2_iii15HIP_vector_typeIjLj3EESB_SB_SB_SB_iiiiiiiiiiiDpT3_,comdat
.Lfunc_end89:
	.size	_ZL11k_bin_bcastIXadL_ZL6op_addffEEfffJPKfS1_S1_S1_S1_S1_S1_S1_EEvPKT0_PKT1_PT2_iii15HIP_vector_typeIjLj3EESB_SB_SB_SB_iiiiiiiiiiiDpT3_, .Lfunc_end89-_ZL11k_bin_bcastIXadL_ZL6op_addffEEfffJPKfS1_S1_S1_S1_S1_S1_S1_EEvPKT0_PKT1_PT2_iii15HIP_vector_typeIjLj3EESB_SB_SB_SB_iiiiiiiiiiiDpT3_
                                        ; -- End function
	.set _ZL11k_bin_bcastIXadL_ZL6op_addffEEfffJPKfS1_S1_S1_S1_S1_S1_S1_EEvPKT0_PKT1_PT2_iii15HIP_vector_typeIjLj3EESB_SB_SB_SB_iiiiiiiiiiiDpT3_.num_vgpr, 33
	.set _ZL11k_bin_bcastIXadL_ZL6op_addffEEfffJPKfS1_S1_S1_S1_S1_S1_S1_EEvPKT0_PKT1_PT2_iii15HIP_vector_typeIjLj3EESB_SB_SB_SB_iiiiiiiiiiiDpT3_.num_agpr, 0
	.set _ZL11k_bin_bcastIXadL_ZL6op_addffEEfffJPKfS1_S1_S1_S1_S1_S1_S1_EEvPKT0_PKT1_PT2_iii15HIP_vector_typeIjLj3EESB_SB_SB_SB_iiiiiiiiiiiDpT3_.numbered_sgpr, 44
	.set _ZL11k_bin_bcastIXadL_ZL6op_addffEEfffJPKfS1_S1_S1_S1_S1_S1_S1_EEvPKT0_PKT1_PT2_iii15HIP_vector_typeIjLj3EESB_SB_SB_SB_iiiiiiiiiiiDpT3_.num_named_barrier, 0
	.set _ZL11k_bin_bcastIXadL_ZL6op_addffEEfffJPKfS1_S1_S1_S1_S1_S1_S1_EEvPKT0_PKT1_PT2_iii15HIP_vector_typeIjLj3EESB_SB_SB_SB_iiiiiiiiiiiDpT3_.private_seg_size, 0
	.set _ZL11k_bin_bcastIXadL_ZL6op_addffEEfffJPKfS1_S1_S1_S1_S1_S1_S1_EEvPKT0_PKT1_PT2_iii15HIP_vector_typeIjLj3EESB_SB_SB_SB_iiiiiiiiiiiDpT3_.uses_vcc, 1
	.set _ZL11k_bin_bcastIXadL_ZL6op_addffEEfffJPKfS1_S1_S1_S1_S1_S1_S1_EEvPKT0_PKT1_PT2_iii15HIP_vector_typeIjLj3EESB_SB_SB_SB_iiiiiiiiiiiDpT3_.uses_flat_scratch, 0
	.set _ZL11k_bin_bcastIXadL_ZL6op_addffEEfffJPKfS1_S1_S1_S1_S1_S1_S1_EEvPKT0_PKT1_PT2_iii15HIP_vector_typeIjLj3EESB_SB_SB_SB_iiiiiiiiiiiDpT3_.has_dyn_sized_stack, 0
	.set _ZL11k_bin_bcastIXadL_ZL6op_addffEEfffJPKfS1_S1_S1_S1_S1_S1_S1_EEvPKT0_PKT1_PT2_iii15HIP_vector_typeIjLj3EESB_SB_SB_SB_iiiiiiiiiiiDpT3_.has_recursion, 0
	.set _ZL11k_bin_bcastIXadL_ZL6op_addffEEfffJPKfS1_S1_S1_S1_S1_S1_S1_EEvPKT0_PKT1_PT2_iii15HIP_vector_typeIjLj3EESB_SB_SB_SB_iiiiiiiiiiiDpT3_.has_indirect_call, 0
	.section	.AMDGPU.csdata,"",@progbits
; Kernel info:
; codeLenInByte = 916
; TotalNumSgprs: 48
; NumVgprs: 33
; ScratchSize: 0
; MemoryBound: 0
; FloatMode: 240
; IeeeMode: 1
; LDSByteSize: 0 bytes/workgroup (compile time only)
; SGPRBlocks: 5
; VGPRBlocks: 8
; NumSGPRsForWavesPerEU: 48
; NumVGPRsForWavesPerEU: 33
; Occupancy: 7
; WaveLimiterHint : 1
; COMPUTE_PGM_RSRC2:SCRATCH_EN: 0
; COMPUTE_PGM_RSRC2:USER_SGPR: 6
; COMPUTE_PGM_RSRC2:TRAP_HANDLER: 0
; COMPUTE_PGM_RSRC2:TGID_X_EN: 1
; COMPUTE_PGM_RSRC2:TGID_Y_EN: 1
; COMPUTE_PGM_RSRC2:TGID_Z_EN: 1
; COMPUTE_PGM_RSRC2:TIDIG_COMP_CNT: 2
	.section	.text._ZL19k_bin_bcast_unravelIXadL_ZL6op_addffEE6__halfS0_S0_JPKS0_S2_S2_S2_S2_S2_S2_S2_EEvPKT0_PKT1_PT2_15HIP_vector_typeIjLj3EESC_SC_jSC_SC_SC_SC_SC_SC_iiiiiiiiiiiDpT3_,"axG",@progbits,_ZL19k_bin_bcast_unravelIXadL_ZL6op_addffEE6__halfS0_S0_JPKS0_S2_S2_S2_S2_S2_S2_S2_EEvPKT0_PKT1_PT2_15HIP_vector_typeIjLj3EESC_SC_jSC_SC_SC_SC_SC_SC_iiiiiiiiiiiDpT3_,comdat
	.globl	_ZL19k_bin_bcast_unravelIXadL_ZL6op_addffEE6__halfS0_S0_JPKS0_S2_S2_S2_S2_S2_S2_S2_EEvPKT0_PKT1_PT2_15HIP_vector_typeIjLj3EESC_SC_jSC_SC_SC_SC_SC_SC_iiiiiiiiiiiDpT3_ ; -- Begin function _ZL19k_bin_bcast_unravelIXadL_ZL6op_addffEE6__halfS0_S0_JPKS0_S2_S2_S2_S2_S2_S2_S2_EEvPKT0_PKT1_PT2_15HIP_vector_typeIjLj3EESC_SC_jSC_SC_SC_SC_SC_SC_iiiiiiiiiiiDpT3_
	.p2align	8
	.type	_ZL19k_bin_bcast_unravelIXadL_ZL6op_addffEE6__halfS0_S0_JPKS0_S2_S2_S2_S2_S2_S2_S2_EEvPKT0_PKT1_PT2_15HIP_vector_typeIjLj3EESC_SC_jSC_SC_SC_SC_SC_SC_iiiiiiiiiiiDpT3_,@function
_ZL19k_bin_bcast_unravelIXadL_ZL6op_addffEE6__halfS0_S0_JPKS0_S2_S2_S2_S2_S2_S2_S2_EEvPKT0_PKT1_PT2_15HIP_vector_typeIjLj3EESC_SC_jSC_SC_SC_SC_SC_SC_iiiiiiiiiiiDpT3_: ; @_ZL19k_bin_bcast_unravelIXadL_ZL6op_addffEE6__halfS0_S0_JPKS0_S2_S2_S2_S2_S2_S2_S2_EEvPKT0_PKT1_PT2_15HIP_vector_typeIjLj3EESC_SC_jSC_SC_SC_SC_SC_SC_iiiiiiiiiiiDpT3_
; %bb.0:
	s_load_dword s0, s[4:5], 0x104
	s_load_dwordx8 s[8:15], s[4:5], 0x38
	s_waitcnt lgkmcnt(0)
	s_and_b32 s0, s0, 0xffff
	s_mul_i32 s6, s6, s0
	v_add_u32_e32 v0, s6, v0
	v_mul_hi_u32 v1, v0, s10
	s_load_dwordx4 s[0:3], s[4:5], 0x18
	s_waitcnt lgkmcnt(0)
	s_load_dword s3, s[4:5], 0x2c
	v_add_u32_e32 v1, v0, v1
	v_lshrrev_b32_e32 v1, s11, v1
	v_mul_lo_u32 v2, v1, s12
	v_sub_u32_e32 v0, v0, v2
	v_mul_hi_u32 v2, v0, s13
	v_add_u32_e32 v2, v0, v2
	v_lshrrev_b32_e32 v3, s14, v2
	v_mul_lo_u32 v2, v3, s15
	v_cmp_gt_u32_e32 vcc, s8, v3
	v_sub_u32_e32 v0, v0, v2
	v_mul_hi_u32 v2, v0, s0
	v_add_u32_e32 v2, v0, v2
	v_lshrrev_b32_e32 v4, s1, v2
	v_mul_lo_u32 v2, v4, s2
	s_waitcnt lgkmcnt(0)
	v_cmp_gt_u32_e64 s[0:1], s3, v4
	v_sub_u32_e32 v0, v0, v2
	v_cmp_gt_u32_e64 s[2:3], s2, v0
	s_and_b64 s[0:1], s[2:3], s[0:1]
	s_and_b64 s[0:1], s[0:1], vcc
	v_cmp_gt_u32_e32 vcc, s9, v1
	s_and_b64 s[0:1], vcc, s[0:1]
	s_and_saveexec_b64 s[2:3], s[0:1]
	s_cbranch_execz .LBB90_4
; %bb.1:
	s_load_dwordx2 s[6:7], s[4:5], 0x0
	s_load_dwordx4 s[0:3], s[4:5], 0xa8
	s_load_dwordx8 s[24:31], s[4:5], 0x88
	s_load_dwordx4 s[16:19], s[4:5], 0x78
	s_load_dwordx8 s[8:15], s[4:5], 0x58
	v_mov_b32_e32 v2, 0
	s_waitcnt lgkmcnt(0)
	s_cmp_eq_u64 s[6:7], 0
	v_mov_b32_e32 v5, 0
	s_cbranch_scc1 .LBB90_3
; %bb.2:
	v_mul_lo_u32 v5, v1, s30
	v_mul_lo_u32 v7, v3, s29
	;; [unrolled: 1-line block ×3, first 2 shown]
	v_mov_b32_e32 v6, 0
	v_mov_b32_e32 v9, s7
	v_add3_u32 v5, v7, v5, v8
	v_lshlrev_b64 v[7:8], 1, v[5:6]
	v_mul_lo_u32 v5, v0, s27
	v_add_co_u32_e32 v7, vcc, s6, v7
	v_addc_co_u32_e32 v8, vcc, v9, v8, vcc
	v_lshlrev_b64 v[5:6], 1, v[5:6]
	v_add_co_u32_e32 v5, vcc, v7, v5
	v_addc_co_u32_e32 v6, vcc, v8, v6, vcc
	global_load_ushort v5, v[5:6], off
	s_waitcnt vmcnt(0)
	v_cvt_f32_f16_e32 v5, v5
.LBB90_3:
	v_mul_hi_u32 v6, s11, v4
	v_mul_hi_u32 v7, s14, v3
	;; [unrolled: 1-line block ×4, first 2 shown]
	v_add_u32_e32 v6, v4, v6
	v_add_u32_e32 v7, v3, v7
	;; [unrolled: 1-line block ×3, first 2 shown]
	v_lshrrev_b32_e32 v6, s12, v6
	v_lshrrev_b32_e32 v7, s15, v7
	;; [unrolled: 1-line block ×3, first 2 shown]
	v_add_u32_e32 v9, v0, v9
	v_mul_lo_u32 v6, v6, s13
	v_mul_lo_u32 v7, v7, s16
	;; [unrolled: 1-line block ×3, first 2 shown]
	v_lshrrev_b32_e32 v9, s9, v9
	v_mul_lo_u32 v9, v9, s10
	v_sub_u32_e32 v6, v4, v6
	v_sub_u32_e32 v7, v3, v7
	;; [unrolled: 1-line block ×3, first 2 shown]
	v_mul_lo_u32 v8, v8, s2
	v_mul_lo_u32 v7, v7, s1
	;; [unrolled: 1-line block ×3, first 2 shown]
	v_sub_u32_e32 v9, v0, v9
	v_mul_lo_u32 v9, v9, s31
	s_load_dwordx16 s[8:23], s[4:5], 0xb8
	v_add3_u32 v6, v7, v8, v6
	v_ashrrev_i32_e32 v7, 31, v6
	v_ashrrev_i32_e32 v8, 31, v9
	v_add_co_u32_e32 v6, vcc, v9, v6
	v_addc_co_u32_e32 v7, vcc, v8, v7, vcc
	v_lshlrev_b64 v[6:7], 1, v[6:7]
	s_waitcnt lgkmcnt(0)
	v_mov_b32_e32 v9, s9
	v_add_co_u32_e32 v8, vcc, s8, v6
	v_addc_co_u32_e32 v9, vcc, v9, v7, vcc
	global_load_ushort v10, v[8:9], off
	v_mov_b32_e32 v9, s11
	v_add_co_u32_e32 v8, vcc, s10, v6
	v_addc_co_u32_e32 v9, vcc, v9, v7, vcc
	global_load_ushort v11, v[8:9], off
	v_mov_b32_e32 v9, s13
	v_add_co_u32_e32 v8, vcc, s12, v6
	v_addc_co_u32_e32 v9, vcc, v9, v7, vcc
	global_load_ushort v12, v[8:9], off
	v_mov_b32_e32 v9, s15
	v_add_co_u32_e32 v8, vcc, s14, v6
	v_addc_co_u32_e32 v9, vcc, v9, v7, vcc
	global_load_ushort v13, v[8:9], off
	v_mov_b32_e32 v9, s17
	v_add_co_u32_e32 v8, vcc, s16, v6
	v_addc_co_u32_e32 v9, vcc, v9, v7, vcc
	global_load_ushort v14, v[8:9], off
	v_mov_b32_e32 v9, s19
	v_add_co_u32_e32 v8, vcc, s18, v6
	v_addc_co_u32_e32 v9, vcc, v9, v7, vcc
	global_load_ushort v15, v[8:9], off
	v_mov_b32_e32 v9, s21
	v_add_co_u32_e32 v8, vcc, s20, v6
	v_addc_co_u32_e32 v9, vcc, v9, v7, vcc
	global_load_ushort v8, v[8:9], off
	v_mov_b32_e32 v9, s23
	v_add_co_u32_e32 v6, vcc, s22, v6
	v_addc_co_u32_e32 v7, vcc, v9, v7, vcc
	global_load_ushort v6, v[6:7], off
	v_mul_lo_u32 v7, v1, s26
	v_mul_lo_u32 v9, v3, s25
	;; [unrolled: 1-line block ×3, first 2 shown]
	s_load_dwordx2 s[0:1], s[4:5], 0x10
	v_mov_b32_e32 v1, v2
	v_lshlrev_b64 v[3:4], 1, v[0:1]
	v_add3_u32 v1, v9, v7, v16
	v_lshlrev_b64 v[0:1], 1, v[1:2]
	s_waitcnt lgkmcnt(0)
	v_mov_b32_e32 v2, s1
	v_add_co_u32_e32 v0, vcc, s0, v0
	v_addc_co_u32_e32 v1, vcc, v2, v1, vcc
	v_add_co_u32_e32 v0, vcc, v0, v3
	v_addc_co_u32_e32 v1, vcc, v1, v4, vcc
	s_waitcnt vmcnt(7)
	v_cvt_f32_f16_e32 v2, v10
	v_add_f32_e32 v2, v5, v2
	s_waitcnt vmcnt(6)
	v_cvt_f32_f16_e32 v7, v11
	v_add_f32_e32 v2, v2, v7
	;; [unrolled: 3-line block ×8, first 2 shown]
	v_cvt_f16_f32_e32 v2, v2
	global_store_short v[0:1], v2, off
.LBB90_4:
	s_endpgm
	.section	.rodata,"a",@progbits
	.p2align	6, 0x0
	.amdhsa_kernel _ZL19k_bin_bcast_unravelIXadL_ZL6op_addffEE6__halfS0_S0_JPKS0_S2_S2_S2_S2_S2_S2_S2_EEvPKT0_PKT1_PT2_15HIP_vector_typeIjLj3EESC_SC_jSC_SC_SC_SC_SC_SC_iiiiiiiiiiiDpT3_
		.amdhsa_group_segment_fixed_size 0
		.amdhsa_private_segment_fixed_size 0
		.amdhsa_kernarg_size 504
		.amdhsa_user_sgpr_count 6
		.amdhsa_user_sgpr_private_segment_buffer 1
		.amdhsa_user_sgpr_dispatch_ptr 0
		.amdhsa_user_sgpr_queue_ptr 0
		.amdhsa_user_sgpr_kernarg_segment_ptr 1
		.amdhsa_user_sgpr_dispatch_id 0
		.amdhsa_user_sgpr_flat_scratch_init 0
		.amdhsa_user_sgpr_private_segment_size 0
		.amdhsa_uses_dynamic_stack 0
		.amdhsa_system_sgpr_private_segment_wavefront_offset 0
		.amdhsa_system_sgpr_workgroup_id_x 1
		.amdhsa_system_sgpr_workgroup_id_y 0
		.amdhsa_system_sgpr_workgroup_id_z 0
		.amdhsa_system_sgpr_workgroup_info 0
		.amdhsa_system_vgpr_workitem_id 0
		.amdhsa_next_free_vgpr 17
		.amdhsa_next_free_sgpr 32
		.amdhsa_reserve_vcc 1
		.amdhsa_reserve_flat_scratch 0
		.amdhsa_float_round_mode_32 0
		.amdhsa_float_round_mode_16_64 0
		.amdhsa_float_denorm_mode_32 3
		.amdhsa_float_denorm_mode_16_64 3
		.amdhsa_dx10_clamp 1
		.amdhsa_ieee_mode 1
		.amdhsa_fp16_overflow 0
		.amdhsa_exception_fp_ieee_invalid_op 0
		.amdhsa_exception_fp_denorm_src 0
		.amdhsa_exception_fp_ieee_div_zero 0
		.amdhsa_exception_fp_ieee_overflow 0
		.amdhsa_exception_fp_ieee_underflow 0
		.amdhsa_exception_fp_ieee_inexact 0
		.amdhsa_exception_int_div_zero 0
	.end_amdhsa_kernel
	.section	.text._ZL19k_bin_bcast_unravelIXadL_ZL6op_addffEE6__halfS0_S0_JPKS0_S2_S2_S2_S2_S2_S2_S2_EEvPKT0_PKT1_PT2_15HIP_vector_typeIjLj3EESC_SC_jSC_SC_SC_SC_SC_SC_iiiiiiiiiiiDpT3_,"axG",@progbits,_ZL19k_bin_bcast_unravelIXadL_ZL6op_addffEE6__halfS0_S0_JPKS0_S2_S2_S2_S2_S2_S2_S2_EEvPKT0_PKT1_PT2_15HIP_vector_typeIjLj3EESC_SC_jSC_SC_SC_SC_SC_SC_iiiiiiiiiiiDpT3_,comdat
.Lfunc_end90:
	.size	_ZL19k_bin_bcast_unravelIXadL_ZL6op_addffEE6__halfS0_S0_JPKS0_S2_S2_S2_S2_S2_S2_S2_EEvPKT0_PKT1_PT2_15HIP_vector_typeIjLj3EESC_SC_jSC_SC_SC_SC_SC_SC_iiiiiiiiiiiDpT3_, .Lfunc_end90-_ZL19k_bin_bcast_unravelIXadL_ZL6op_addffEE6__halfS0_S0_JPKS0_S2_S2_S2_S2_S2_S2_S2_EEvPKT0_PKT1_PT2_15HIP_vector_typeIjLj3EESC_SC_jSC_SC_SC_SC_SC_SC_iiiiiiiiiiiDpT3_
                                        ; -- End function
	.set _ZL19k_bin_bcast_unravelIXadL_ZL6op_addffEE6__halfS0_S0_JPKS0_S2_S2_S2_S2_S2_S2_S2_EEvPKT0_PKT1_PT2_15HIP_vector_typeIjLj3EESC_SC_jSC_SC_SC_SC_SC_SC_iiiiiiiiiiiDpT3_.num_vgpr, 17
	.set _ZL19k_bin_bcast_unravelIXadL_ZL6op_addffEE6__halfS0_S0_JPKS0_S2_S2_S2_S2_S2_S2_S2_EEvPKT0_PKT1_PT2_15HIP_vector_typeIjLj3EESC_SC_jSC_SC_SC_SC_SC_SC_iiiiiiiiiiiDpT3_.num_agpr, 0
	.set _ZL19k_bin_bcast_unravelIXadL_ZL6op_addffEE6__halfS0_S0_JPKS0_S2_S2_S2_S2_S2_S2_S2_EEvPKT0_PKT1_PT2_15HIP_vector_typeIjLj3EESC_SC_jSC_SC_SC_SC_SC_SC_iiiiiiiiiiiDpT3_.numbered_sgpr, 32
	.set _ZL19k_bin_bcast_unravelIXadL_ZL6op_addffEE6__halfS0_S0_JPKS0_S2_S2_S2_S2_S2_S2_S2_EEvPKT0_PKT1_PT2_15HIP_vector_typeIjLj3EESC_SC_jSC_SC_SC_SC_SC_SC_iiiiiiiiiiiDpT3_.num_named_barrier, 0
	.set _ZL19k_bin_bcast_unravelIXadL_ZL6op_addffEE6__halfS0_S0_JPKS0_S2_S2_S2_S2_S2_S2_S2_EEvPKT0_PKT1_PT2_15HIP_vector_typeIjLj3EESC_SC_jSC_SC_SC_SC_SC_SC_iiiiiiiiiiiDpT3_.private_seg_size, 0
	.set _ZL19k_bin_bcast_unravelIXadL_ZL6op_addffEE6__halfS0_S0_JPKS0_S2_S2_S2_S2_S2_S2_S2_EEvPKT0_PKT1_PT2_15HIP_vector_typeIjLj3EESC_SC_jSC_SC_SC_SC_SC_SC_iiiiiiiiiiiDpT3_.uses_vcc, 1
	.set _ZL19k_bin_bcast_unravelIXadL_ZL6op_addffEE6__halfS0_S0_JPKS0_S2_S2_S2_S2_S2_S2_S2_EEvPKT0_PKT1_PT2_15HIP_vector_typeIjLj3EESC_SC_jSC_SC_SC_SC_SC_SC_iiiiiiiiiiiDpT3_.uses_flat_scratch, 0
	.set _ZL19k_bin_bcast_unravelIXadL_ZL6op_addffEE6__halfS0_S0_JPKS0_S2_S2_S2_S2_S2_S2_S2_EEvPKT0_PKT1_PT2_15HIP_vector_typeIjLj3EESC_SC_jSC_SC_SC_SC_SC_SC_iiiiiiiiiiiDpT3_.has_dyn_sized_stack, 0
	.set _ZL19k_bin_bcast_unravelIXadL_ZL6op_addffEE6__halfS0_S0_JPKS0_S2_S2_S2_S2_S2_S2_S2_EEvPKT0_PKT1_PT2_15HIP_vector_typeIjLj3EESC_SC_jSC_SC_SC_SC_SC_SC_iiiiiiiiiiiDpT3_.has_recursion, 0
	.set _ZL19k_bin_bcast_unravelIXadL_ZL6op_addffEE6__halfS0_S0_JPKS0_S2_S2_S2_S2_S2_S2_S2_EEvPKT0_PKT1_PT2_15HIP_vector_typeIjLj3EESC_SC_jSC_SC_SC_SC_SC_SC_iiiiiiiiiiiDpT3_.has_indirect_call, 0
	.section	.AMDGPU.csdata,"",@progbits
; Kernel info:
; codeLenInByte = 888
; TotalNumSgprs: 36
; NumVgprs: 17
; ScratchSize: 0
; MemoryBound: 0
; FloatMode: 240
; IeeeMode: 1
; LDSByteSize: 0 bytes/workgroup (compile time only)
; SGPRBlocks: 4
; VGPRBlocks: 4
; NumSGPRsForWavesPerEU: 36
; NumVGPRsForWavesPerEU: 17
; Occupancy: 10
; WaveLimiterHint : 1
; COMPUTE_PGM_RSRC2:SCRATCH_EN: 0
; COMPUTE_PGM_RSRC2:USER_SGPR: 6
; COMPUTE_PGM_RSRC2:TRAP_HANDLER: 0
; COMPUTE_PGM_RSRC2:TGID_X_EN: 1
; COMPUTE_PGM_RSRC2:TGID_Y_EN: 0
; COMPUTE_PGM_RSRC2:TGID_Z_EN: 0
; COMPUTE_PGM_RSRC2:TIDIG_COMP_CNT: 0
	.section	.text._ZL11k_bin_bcastIXadL_ZL6op_addffEE6__halfS0_S0_JPKS0_S2_S2_S2_S2_S2_S2_S2_EEvPKT0_PKT1_PT2_iii15HIP_vector_typeIjLj3EESC_SC_SC_SC_iiiiiiiiiiiDpT3_,"axG",@progbits,_ZL11k_bin_bcastIXadL_ZL6op_addffEE6__halfS0_S0_JPKS0_S2_S2_S2_S2_S2_S2_S2_EEvPKT0_PKT1_PT2_iii15HIP_vector_typeIjLj3EESC_SC_SC_SC_iiiiiiiiiiiDpT3_,comdat
	.globl	_ZL11k_bin_bcastIXadL_ZL6op_addffEE6__halfS0_S0_JPKS0_S2_S2_S2_S2_S2_S2_S2_EEvPKT0_PKT1_PT2_iii15HIP_vector_typeIjLj3EESC_SC_SC_SC_iiiiiiiiiiiDpT3_ ; -- Begin function _ZL11k_bin_bcastIXadL_ZL6op_addffEE6__halfS0_S0_JPKS0_S2_S2_S2_S2_S2_S2_S2_EEvPKT0_PKT1_PT2_iii15HIP_vector_typeIjLj3EESC_SC_SC_SC_iiiiiiiiiiiDpT3_
	.p2align	8
	.type	_ZL11k_bin_bcastIXadL_ZL6op_addffEE6__halfS0_S0_JPKS0_S2_S2_S2_S2_S2_S2_S2_EEvPKT0_PKT1_PT2_iii15HIP_vector_typeIjLj3EESC_SC_SC_SC_iiiiiiiiiiiDpT3_,@function
_ZL11k_bin_bcastIXadL_ZL6op_addffEE6__halfS0_S0_JPKS0_S2_S2_S2_S2_S2_S2_S2_EEvPKT0_PKT1_PT2_iii15HIP_vector_typeIjLj3EESC_SC_SC_SC_iiiiiiiiiiiDpT3_: ; @_ZL11k_bin_bcastIXadL_ZL6op_addffEE6__halfS0_S0_JPKS0_S2_S2_S2_S2_S2_S2_S2_EEvPKT0_PKT1_PT2_iii15HIP_vector_typeIjLj3EESC_SC_SC_SC_iiiiiiiiiiiDpT3_
; %bb.0:
	s_load_dwordx2 s[0:1], s[4:5], 0xdc
	s_load_dwordx8 s[24:31], s[4:5], 0x18
	s_add_u32 s2, s4, 0xd0
	s_addc_u32 s3, s5, 0
	s_waitcnt lgkmcnt(0)
	s_and_b32 s1, s1, 0xffff
	s_mul_i32 s8, s8, s1
	v_add_u32_e32 v3, s8, v2
	v_mul_hi_u32 v2, v3, s27
	s_lshr_b32 s1, s0, 16
	s_and_b32 s27, s0, 0xffff
	s_mul_i32 s6, s6, s27
	v_add_u32_e32 v2, v3, v2
	v_lshrrev_b32_e32 v2, s28, v2
	v_mul_lo_u32 v4, v2, s29
	s_mul_i32 s7, s7, s1
	v_add_u32_e32 v0, s6, v0
	v_add_u32_e32 v1, s7, v1
	v_cmp_gt_u32_e32 vcc, s24, v0
	v_cmp_gt_u32_e64 s[0:1], s25, v1
	v_sub_u32_e32 v3, v3, v4
	s_and_b64 s[0:1], vcc, s[0:1]
	v_cmp_gt_u32_e32 vcc, s26, v2
	s_and_b64 s[0:1], s[0:1], vcc
	v_cmp_gt_u32_e32 vcc, s29, v3
	s_and_b64 s[0:1], s[0:1], vcc
	s_and_saveexec_b64 s[6:7], s[0:1]
	s_cbranch_execz .LBB91_6
; %bb.1:
	v_cmp_gt_i32_e32 vcc, s24, v0
	s_and_b64 exec, exec, vcc
	s_cbranch_execz .LBB91_6
; %bb.2:
	s_load_dwordx8 s[8:15], s[4:5], 0x3c
	s_load_dwordx8 s[36:43], s[4:5], 0x60
	s_load_dwordx4 s[16:19], s[4:5], 0x80
	s_load_dword s6, s[2:3], 0x0
	s_load_dword s0, s[4:5], 0x5c
	s_waitcnt lgkmcnt(0)
	v_mul_hi_u32 v4, s8, v1
	v_mul_hi_u32 v5, s11, v2
	;; [unrolled: 1-line block ×3, first 2 shown]
	v_mul_lo_u32 v7, v3, s42
	v_add_u32_e32 v4, v1, v4
	v_add_u32_e32 v5, v2, v5
	;; [unrolled: 1-line block ×3, first 2 shown]
	v_lshrrev_b32_e32 v4, s9, v4
	v_lshrrev_b32_e32 v5, s12, v5
	;; [unrolled: 1-line block ×3, first 2 shown]
	v_mul_lo_u32 v4, v4, s10
	v_mul_lo_u32 v5, v5, s13
	;; [unrolled: 1-line block ×5, first 2 shown]
	v_sub_u32_e32 v4, v1, v4
	v_sub_u32_e32 v5, v2, v5
	;; [unrolled: 1-line block ×3, first 2 shown]
	s_load_dword s7, s[4:5], 0x38
	s_load_dwordx2 s[0:1], s[4:5], 0x0
	s_load_dwordx2 s[2:3], s[4:5], 0x10
	v_mul_lo_u32 v6, v6, s18
	v_mul_lo_u32 v5, v5, s17
	;; [unrolled: 1-line block ×6, first 2 shown]
	v_add3_u32 v1, v8, v9, v7
	v_mov_b32_e32 v2, 0
	v_mov_b32_e32 v8, v2
	v_lshlrev_b64 v[1:2], 1, v[1:2]
	v_add3_u32 v4, v5, v6, v4
	v_add3_u32 v7, v10, v11, v3
	s_waitcnt lgkmcnt(0)
	v_mov_b32_e32 v3, s1
	v_add_co_u32_e32 v5, vcc, s0, v1
	v_addc_co_u32_e32 v6, vcc, v3, v2, vcc
	v_lshlrev_b64 v[1:2], 1, v[7:8]
	s_load_dwordx16 s[8:23], s[4:5], 0x90
	v_mov_b32_e32 v3, s3
	v_add_co_u32_e32 v7, vcc, s2, v1
	v_addc_co_u32_e32 v8, vcc, v3, v2, vcc
	s_cmp_lg_u64 s[0:1], 0
	v_mul_lo_u32 v2, s39, v0
	s_cselect_b64 s[0:1], -1, 0
	s_mul_i32 s4, s6, s27
	v_cndmask_b32_e64 v1, 0, 1, s[0:1]
	s_mov_b64 s[2:3], 0
	s_mul_i32 s5, s4, s39
	s_sub_i32 s6, 0, s7
	s_waitcnt lgkmcnt(0)
	v_mov_b32_e32 v9, s9
	v_mov_b32_e32 v10, s11
	v_mov_b32_e32 v11, s13
	v_mov_b32_e32 v12, s15
	v_cmp_ne_u32_e64 s[0:1], 1, v1
	v_mov_b32_e32 v13, s17
	v_mov_b32_e32 v14, s19
	;; [unrolled: 1-line block ×4, first 2 shown]
	s_branch .LBB91_4
.LBB91_3:                               ;   in Loop: Header=BB91_4 Depth=1
	v_mul_hi_u32 v1, s30, v0
	v_add_u32_e32 v2, s5, v2
	v_add_u32_e32 v1, v0, v1
	v_lshrrev_b32_e32 v1, s31, v1
	v_mad_u64_u32 v[17:18], s[26:27], s6, v1, v[0:1]
	v_mul_lo_u32 v1, v17, s43
	v_add_co_u32_e32 v17, vcc, v1, v4
	v_addc_co_u32_e64 v18, s[26:27], 0, 0, vcc
	v_lshlrev_b64 v[17:18], 1, v[17:18]
	v_ashrrev_i32_e32 v1, 31, v0
	v_add_co_u32_e32 v19, vcc, s8, v17
	v_addc_co_u32_e32 v20, vcc, v9, v18, vcc
	v_add_co_u32_e32 v21, vcc, s10, v17
	v_addc_co_u32_e32 v22, vcc, v10, v18, vcc
	;; [unrolled: 2-line block ×8, first 2 shown]
	global_load_ushort v19, v[19:20], off
	s_nop 0
	global_load_ushort v20, v[21:22], off
	s_nop 0
	global_load_ushort v21, v[23:24], off
	global_load_ushort v22, v[25:26], off
                                        ; kill: killed $vgpr23 killed $vgpr24
                                        ; kill: killed $vgpr25 killed $vgpr26
	s_nop 0
	global_load_ushort v23, v[27:28], off
	global_load_ushort v24, v[29:30], off
	;; [unrolled: 1-line block ×4, first 2 shown]
	v_lshlrev_b64 v[17:18], 1, v[0:1]
	v_add_u32_e32 v0, s4, v0
	v_cmp_le_i32_e32 vcc, s24, v0
	s_or_b64 s[2:3], vcc, s[2:3]
	v_add_co_u32_e32 v17, vcc, v7, v17
	v_addc_co_u32_e32 v18, vcc, v8, v18, vcc
	s_waitcnt vmcnt(7)
	v_cvt_f32_f16_e32 v1, v19
	s_waitcnt vmcnt(6)
	v_cvt_f32_f16_e32 v19, v20
	;; [unrolled: 2-line block ×4, first 2 shown]
	v_add_f32_e32 v1, v3, v1
	v_add_f32_e32 v1, v1, v19
	s_waitcnt vmcnt(3)
	v_cvt_f32_f16_e32 v22, v23
	s_waitcnt vmcnt(2)
	v_cvt_f32_f16_e32 v23, v24
	;; [unrolled: 2-line block ×3, first 2 shown]
	v_add_f32_e32 v1, v1, v20
	s_waitcnt vmcnt(0)
	v_cvt_f32_f16_e32 v25, v26
	v_add_f32_e32 v1, v1, v21
	v_add_f32_e32 v1, v1, v22
	;; [unrolled: 1-line block ×5, first 2 shown]
	v_cvt_f16_f32_e32 v1, v1
	global_store_short v[17:18], v1, off
	s_andn2_b64 exec, exec, s[2:3]
	s_cbranch_execz .LBB91_6
.LBB91_4:                               ; =>This Inner Loop Header: Depth=1
	s_and_b64 vcc, exec, s[0:1]
	v_mov_b32_e32 v3, 0
	s_cbranch_vccnz .LBB91_3
; %bb.5:                                ;   in Loop: Header=BB91_4 Depth=1
	v_ashrrev_i32_e32 v3, 31, v2
	v_lshlrev_b64 v[17:18], 1, v[2:3]
	v_add_co_u32_e32 v17, vcc, v5, v17
	v_addc_co_u32_e32 v18, vcc, v6, v18, vcc
	global_load_ushort v1, v[17:18], off
	s_waitcnt vmcnt(0)
	v_cvt_f32_f16_e32 v3, v1
	s_branch .LBB91_3
.LBB91_6:
	s_endpgm
	.section	.rodata,"a",@progbits
	.p2align	6, 0x0
	.amdhsa_kernel _ZL11k_bin_bcastIXadL_ZL6op_addffEE6__halfS0_S0_JPKS0_S2_S2_S2_S2_S2_S2_S2_EEvPKT0_PKT1_PT2_iii15HIP_vector_typeIjLj3EESC_SC_SC_SC_iiiiiiiiiiiDpT3_
		.amdhsa_group_segment_fixed_size 0
		.amdhsa_private_segment_fixed_size 0
		.amdhsa_kernarg_size 464
		.amdhsa_user_sgpr_count 6
		.amdhsa_user_sgpr_private_segment_buffer 1
		.amdhsa_user_sgpr_dispatch_ptr 0
		.amdhsa_user_sgpr_queue_ptr 0
		.amdhsa_user_sgpr_kernarg_segment_ptr 1
		.amdhsa_user_sgpr_dispatch_id 0
		.amdhsa_user_sgpr_flat_scratch_init 0
		.amdhsa_user_sgpr_private_segment_size 0
		.amdhsa_uses_dynamic_stack 0
		.amdhsa_system_sgpr_private_segment_wavefront_offset 0
		.amdhsa_system_sgpr_workgroup_id_x 1
		.amdhsa_system_sgpr_workgroup_id_y 1
		.amdhsa_system_sgpr_workgroup_id_z 1
		.amdhsa_system_sgpr_workgroup_info 0
		.amdhsa_system_vgpr_workitem_id 2
		.amdhsa_next_free_vgpr 33
		.amdhsa_next_free_sgpr 44
		.amdhsa_reserve_vcc 1
		.amdhsa_reserve_flat_scratch 0
		.amdhsa_float_round_mode_32 0
		.amdhsa_float_round_mode_16_64 0
		.amdhsa_float_denorm_mode_32 3
		.amdhsa_float_denorm_mode_16_64 3
		.amdhsa_dx10_clamp 1
		.amdhsa_ieee_mode 1
		.amdhsa_fp16_overflow 0
		.amdhsa_exception_fp_ieee_invalid_op 0
		.amdhsa_exception_fp_denorm_src 0
		.amdhsa_exception_fp_ieee_div_zero 0
		.amdhsa_exception_fp_ieee_overflow 0
		.amdhsa_exception_fp_ieee_underflow 0
		.amdhsa_exception_fp_ieee_inexact 0
		.amdhsa_exception_int_div_zero 0
	.end_amdhsa_kernel
	.section	.text._ZL11k_bin_bcastIXadL_ZL6op_addffEE6__halfS0_S0_JPKS0_S2_S2_S2_S2_S2_S2_S2_EEvPKT0_PKT1_PT2_iii15HIP_vector_typeIjLj3EESC_SC_SC_SC_iiiiiiiiiiiDpT3_,"axG",@progbits,_ZL11k_bin_bcastIXadL_ZL6op_addffEE6__halfS0_S0_JPKS0_S2_S2_S2_S2_S2_S2_S2_EEvPKT0_PKT1_PT2_iii15HIP_vector_typeIjLj3EESC_SC_SC_SC_iiiiiiiiiiiDpT3_,comdat
.Lfunc_end91:
	.size	_ZL11k_bin_bcastIXadL_ZL6op_addffEE6__halfS0_S0_JPKS0_S2_S2_S2_S2_S2_S2_S2_EEvPKT0_PKT1_PT2_iii15HIP_vector_typeIjLj3EESC_SC_SC_SC_iiiiiiiiiiiDpT3_, .Lfunc_end91-_ZL11k_bin_bcastIXadL_ZL6op_addffEE6__halfS0_S0_JPKS0_S2_S2_S2_S2_S2_S2_S2_EEvPKT0_PKT1_PT2_iii15HIP_vector_typeIjLj3EESC_SC_SC_SC_iiiiiiiiiiiDpT3_
                                        ; -- End function
	.set _ZL11k_bin_bcastIXadL_ZL6op_addffEE6__halfS0_S0_JPKS0_S2_S2_S2_S2_S2_S2_S2_EEvPKT0_PKT1_PT2_iii15HIP_vector_typeIjLj3EESC_SC_SC_SC_iiiiiiiiiiiDpT3_.num_vgpr, 33
	.set _ZL11k_bin_bcastIXadL_ZL6op_addffEE6__halfS0_S0_JPKS0_S2_S2_S2_S2_S2_S2_S2_EEvPKT0_PKT1_PT2_iii15HIP_vector_typeIjLj3EESC_SC_SC_SC_iiiiiiiiiiiDpT3_.num_agpr, 0
	.set _ZL11k_bin_bcastIXadL_ZL6op_addffEE6__halfS0_S0_JPKS0_S2_S2_S2_S2_S2_S2_S2_EEvPKT0_PKT1_PT2_iii15HIP_vector_typeIjLj3EESC_SC_SC_SC_iiiiiiiiiiiDpT3_.numbered_sgpr, 44
	.set _ZL11k_bin_bcastIXadL_ZL6op_addffEE6__halfS0_S0_JPKS0_S2_S2_S2_S2_S2_S2_S2_EEvPKT0_PKT1_PT2_iii15HIP_vector_typeIjLj3EESC_SC_SC_SC_iiiiiiiiiiiDpT3_.num_named_barrier, 0
	.set _ZL11k_bin_bcastIXadL_ZL6op_addffEE6__halfS0_S0_JPKS0_S2_S2_S2_S2_S2_S2_S2_EEvPKT0_PKT1_PT2_iii15HIP_vector_typeIjLj3EESC_SC_SC_SC_iiiiiiiiiiiDpT3_.private_seg_size, 0
	.set _ZL11k_bin_bcastIXadL_ZL6op_addffEE6__halfS0_S0_JPKS0_S2_S2_S2_S2_S2_S2_S2_EEvPKT0_PKT1_PT2_iii15HIP_vector_typeIjLj3EESC_SC_SC_SC_iiiiiiiiiiiDpT3_.uses_vcc, 1
	.set _ZL11k_bin_bcastIXadL_ZL6op_addffEE6__halfS0_S0_JPKS0_S2_S2_S2_S2_S2_S2_S2_EEvPKT0_PKT1_PT2_iii15HIP_vector_typeIjLj3EESC_SC_SC_SC_iiiiiiiiiiiDpT3_.uses_flat_scratch, 0
	.set _ZL11k_bin_bcastIXadL_ZL6op_addffEE6__halfS0_S0_JPKS0_S2_S2_S2_S2_S2_S2_S2_EEvPKT0_PKT1_PT2_iii15HIP_vector_typeIjLj3EESC_SC_SC_SC_iiiiiiiiiiiDpT3_.has_dyn_sized_stack, 0
	.set _ZL11k_bin_bcastIXadL_ZL6op_addffEE6__halfS0_S0_JPKS0_S2_S2_S2_S2_S2_S2_S2_EEvPKT0_PKT1_PT2_iii15HIP_vector_typeIjLj3EESC_SC_SC_SC_iiiiiiiiiiiDpT3_.has_recursion, 0
	.set _ZL11k_bin_bcastIXadL_ZL6op_addffEE6__halfS0_S0_JPKS0_S2_S2_S2_S2_S2_S2_S2_EEvPKT0_PKT1_PT2_iii15HIP_vector_typeIjLj3EESC_SC_SC_SC_iiiiiiiiiiiDpT3_.has_indirect_call, 0
	.section	.AMDGPU.csdata,"",@progbits
; Kernel info:
; codeLenInByte = 952
; TotalNumSgprs: 48
; NumVgprs: 33
; ScratchSize: 0
; MemoryBound: 0
; FloatMode: 240
; IeeeMode: 1
; LDSByteSize: 0 bytes/workgroup (compile time only)
; SGPRBlocks: 5
; VGPRBlocks: 8
; NumSGPRsForWavesPerEU: 48
; NumVGPRsForWavesPerEU: 33
; Occupancy: 7
; WaveLimiterHint : 1
; COMPUTE_PGM_RSRC2:SCRATCH_EN: 0
; COMPUTE_PGM_RSRC2:USER_SGPR: 6
; COMPUTE_PGM_RSRC2:TRAP_HANDLER: 0
; COMPUTE_PGM_RSRC2:TGID_X_EN: 1
; COMPUTE_PGM_RSRC2:TGID_Y_EN: 1
; COMPUTE_PGM_RSRC2:TGID_Z_EN: 1
; COMPUTE_PGM_RSRC2:TIDIG_COMP_CNT: 2
	.section	.text._ZL19k_bin_bcast_unravelIXadL_ZL6op_addffEE6__halffS0_JPKfS2_S2_S2_S2_S2_S2_S2_EEvPKT0_PKT1_PT2_15HIP_vector_typeIjLj3EESC_SC_jSC_SC_SC_SC_SC_SC_iiiiiiiiiiiDpT3_,"axG",@progbits,_ZL19k_bin_bcast_unravelIXadL_ZL6op_addffEE6__halffS0_JPKfS2_S2_S2_S2_S2_S2_S2_EEvPKT0_PKT1_PT2_15HIP_vector_typeIjLj3EESC_SC_jSC_SC_SC_SC_SC_SC_iiiiiiiiiiiDpT3_,comdat
	.globl	_ZL19k_bin_bcast_unravelIXadL_ZL6op_addffEE6__halffS0_JPKfS2_S2_S2_S2_S2_S2_S2_EEvPKT0_PKT1_PT2_15HIP_vector_typeIjLj3EESC_SC_jSC_SC_SC_SC_SC_SC_iiiiiiiiiiiDpT3_ ; -- Begin function _ZL19k_bin_bcast_unravelIXadL_ZL6op_addffEE6__halffS0_JPKfS2_S2_S2_S2_S2_S2_S2_EEvPKT0_PKT1_PT2_15HIP_vector_typeIjLj3EESC_SC_jSC_SC_SC_SC_SC_SC_iiiiiiiiiiiDpT3_
	.p2align	8
	.type	_ZL19k_bin_bcast_unravelIXadL_ZL6op_addffEE6__halffS0_JPKfS2_S2_S2_S2_S2_S2_S2_EEvPKT0_PKT1_PT2_15HIP_vector_typeIjLj3EESC_SC_jSC_SC_SC_SC_SC_SC_iiiiiiiiiiiDpT3_,@function
_ZL19k_bin_bcast_unravelIXadL_ZL6op_addffEE6__halffS0_JPKfS2_S2_S2_S2_S2_S2_S2_EEvPKT0_PKT1_PT2_15HIP_vector_typeIjLj3EESC_SC_jSC_SC_SC_SC_SC_SC_iiiiiiiiiiiDpT3_: ; @_ZL19k_bin_bcast_unravelIXadL_ZL6op_addffEE6__halffS0_JPKfS2_S2_S2_S2_S2_S2_S2_EEvPKT0_PKT1_PT2_15HIP_vector_typeIjLj3EESC_SC_jSC_SC_SC_SC_SC_SC_iiiiiiiiiiiDpT3_
; %bb.0:
	s_load_dword s0, s[4:5], 0x104
	s_load_dwordx8 s[8:15], s[4:5], 0x38
	s_waitcnt lgkmcnt(0)
	s_and_b32 s0, s0, 0xffff
	s_mul_i32 s6, s6, s0
	v_add_u32_e32 v0, s6, v0
	v_mul_hi_u32 v1, v0, s10
	s_load_dwordx4 s[0:3], s[4:5], 0x18
	s_waitcnt lgkmcnt(0)
	s_load_dword s3, s[4:5], 0x2c
	v_add_u32_e32 v1, v0, v1
	v_lshrrev_b32_e32 v1, s11, v1
	v_mul_lo_u32 v2, v1, s12
	v_sub_u32_e32 v0, v0, v2
	v_mul_hi_u32 v2, v0, s13
	v_add_u32_e32 v2, v0, v2
	v_lshrrev_b32_e32 v3, s14, v2
	v_mul_lo_u32 v2, v3, s15
	v_cmp_gt_u32_e32 vcc, s8, v3
	v_sub_u32_e32 v0, v0, v2
	v_mul_hi_u32 v2, v0, s0
	v_add_u32_e32 v2, v0, v2
	v_lshrrev_b32_e32 v4, s1, v2
	v_mul_lo_u32 v2, v4, s2
	s_waitcnt lgkmcnt(0)
	v_cmp_gt_u32_e64 s[0:1], s3, v4
	v_sub_u32_e32 v0, v0, v2
	v_cmp_gt_u32_e64 s[2:3], s2, v0
	s_and_b64 s[0:1], s[2:3], s[0:1]
	s_and_b64 s[0:1], s[0:1], vcc
	v_cmp_gt_u32_e32 vcc, s9, v1
	s_and_b64 s[0:1], vcc, s[0:1]
	s_and_saveexec_b64 s[2:3], s[0:1]
	s_cbranch_execz .LBB92_4
; %bb.1:
	s_load_dwordx2 s[6:7], s[4:5], 0x0
	s_load_dwordx4 s[0:3], s[4:5], 0xa8
	s_load_dwordx8 s[24:31], s[4:5], 0x88
	s_load_dwordx4 s[16:19], s[4:5], 0x78
	s_load_dwordx8 s[8:15], s[4:5], 0x58
	v_mov_b32_e32 v2, 0
	s_waitcnt lgkmcnt(0)
	s_cmp_eq_u64 s[6:7], 0
	v_mov_b32_e32 v5, 0
	s_cbranch_scc1 .LBB92_3
; %bb.2:
	v_mul_lo_u32 v5, v1, s30
	v_mul_lo_u32 v7, v3, s29
	v_mul_lo_u32 v8, v4, s28
	v_mov_b32_e32 v6, 0
	v_mov_b32_e32 v9, s7
	v_add3_u32 v5, v7, v5, v8
	v_lshlrev_b64 v[7:8], 1, v[5:6]
	v_mul_lo_u32 v5, v0, s27
	v_add_co_u32_e32 v7, vcc, s6, v7
	v_addc_co_u32_e32 v8, vcc, v9, v8, vcc
	v_lshlrev_b64 v[5:6], 1, v[5:6]
	v_add_co_u32_e32 v5, vcc, v7, v5
	v_addc_co_u32_e32 v6, vcc, v8, v6, vcc
	global_load_ushort v5, v[5:6], off
	s_waitcnt vmcnt(0)
	v_cvt_f32_f16_e32 v5, v5
.LBB92_3:
	v_mul_hi_u32 v6, s11, v4
	v_mul_hi_u32 v7, s14, v3
	v_mul_hi_u32 v8, s17, v1
	v_mul_hi_u32 v9, s8, v0
	v_add_u32_e32 v6, v4, v6
	v_add_u32_e32 v7, v3, v7
	;; [unrolled: 1-line block ×3, first 2 shown]
	v_lshrrev_b32_e32 v6, s12, v6
	v_lshrrev_b32_e32 v7, s15, v7
	;; [unrolled: 1-line block ×3, first 2 shown]
	v_add_u32_e32 v9, v0, v9
	v_mul_lo_u32 v6, v6, s13
	v_mul_lo_u32 v7, v7, s16
	;; [unrolled: 1-line block ×3, first 2 shown]
	v_lshrrev_b32_e32 v9, s9, v9
	v_mul_lo_u32 v9, v9, s10
	v_sub_u32_e32 v6, v4, v6
	v_sub_u32_e32 v7, v3, v7
	;; [unrolled: 1-line block ×3, first 2 shown]
	v_mul_lo_u32 v8, v8, s2
	v_mul_lo_u32 v7, v7, s1
	;; [unrolled: 1-line block ×3, first 2 shown]
	v_sub_u32_e32 v9, v0, v9
	v_mul_lo_u32 v9, v9, s31
	s_load_dwordx16 s[8:23], s[4:5], 0xb8
	v_add3_u32 v6, v7, v8, v6
	v_ashrrev_i32_e32 v7, 31, v6
	v_ashrrev_i32_e32 v8, 31, v9
	v_add_co_u32_e32 v6, vcc, v9, v6
	v_addc_co_u32_e32 v7, vcc, v8, v7, vcc
	v_lshlrev_b64 v[6:7], 2, v[6:7]
	s_waitcnt lgkmcnt(0)
	v_mov_b32_e32 v9, s9
	v_add_co_u32_e32 v8, vcc, s8, v6
	v_addc_co_u32_e32 v9, vcc, v9, v7, vcc
	global_load_dword v10, v[8:9], off
	v_mov_b32_e32 v9, s11
	v_add_co_u32_e32 v8, vcc, s10, v6
	v_addc_co_u32_e32 v9, vcc, v9, v7, vcc
	global_load_dword v11, v[8:9], off
	;; [unrolled: 4-line block ×8, first 2 shown]
	v_mul_lo_u32 v7, v1, s26
	v_mul_lo_u32 v9, v3, s25
	;; [unrolled: 1-line block ×3, first 2 shown]
	s_load_dwordx2 s[0:1], s[4:5], 0x10
	v_mov_b32_e32 v1, v2
	v_lshlrev_b64 v[3:4], 1, v[0:1]
	v_add3_u32 v1, v9, v7, v16
	v_lshlrev_b64 v[0:1], 1, v[1:2]
	s_waitcnt lgkmcnt(0)
	v_mov_b32_e32 v2, s1
	v_add_co_u32_e32 v0, vcc, s0, v0
	v_addc_co_u32_e32 v1, vcc, v2, v1, vcc
	v_add_co_u32_e32 v0, vcc, v0, v3
	v_addc_co_u32_e32 v1, vcc, v1, v4, vcc
	s_waitcnt vmcnt(7)
	v_add_f32_e32 v2, v5, v10
	s_waitcnt vmcnt(6)
	v_add_f32_e32 v2, v2, v11
	;; [unrolled: 2-line block ×8, first 2 shown]
	v_cvt_f16_f32_e32 v2, v2
	global_store_short v[0:1], v2, off
.LBB92_4:
	s_endpgm
	.section	.rodata,"a",@progbits
	.p2align	6, 0x0
	.amdhsa_kernel _ZL19k_bin_bcast_unravelIXadL_ZL6op_addffEE6__halffS0_JPKfS2_S2_S2_S2_S2_S2_S2_EEvPKT0_PKT1_PT2_15HIP_vector_typeIjLj3EESC_SC_jSC_SC_SC_SC_SC_SC_iiiiiiiiiiiDpT3_
		.amdhsa_group_segment_fixed_size 0
		.amdhsa_private_segment_fixed_size 0
		.amdhsa_kernarg_size 504
		.amdhsa_user_sgpr_count 6
		.amdhsa_user_sgpr_private_segment_buffer 1
		.amdhsa_user_sgpr_dispatch_ptr 0
		.amdhsa_user_sgpr_queue_ptr 0
		.amdhsa_user_sgpr_kernarg_segment_ptr 1
		.amdhsa_user_sgpr_dispatch_id 0
		.amdhsa_user_sgpr_flat_scratch_init 0
		.amdhsa_user_sgpr_private_segment_size 0
		.amdhsa_uses_dynamic_stack 0
		.amdhsa_system_sgpr_private_segment_wavefront_offset 0
		.amdhsa_system_sgpr_workgroup_id_x 1
		.amdhsa_system_sgpr_workgroup_id_y 0
		.amdhsa_system_sgpr_workgroup_id_z 0
		.amdhsa_system_sgpr_workgroup_info 0
		.amdhsa_system_vgpr_workitem_id 0
		.amdhsa_next_free_vgpr 17
		.amdhsa_next_free_sgpr 32
		.amdhsa_reserve_vcc 1
		.amdhsa_reserve_flat_scratch 0
		.amdhsa_float_round_mode_32 0
		.amdhsa_float_round_mode_16_64 0
		.amdhsa_float_denorm_mode_32 3
		.amdhsa_float_denorm_mode_16_64 3
		.amdhsa_dx10_clamp 1
		.amdhsa_ieee_mode 1
		.amdhsa_fp16_overflow 0
		.amdhsa_exception_fp_ieee_invalid_op 0
		.amdhsa_exception_fp_denorm_src 0
		.amdhsa_exception_fp_ieee_div_zero 0
		.amdhsa_exception_fp_ieee_overflow 0
		.amdhsa_exception_fp_ieee_underflow 0
		.amdhsa_exception_fp_ieee_inexact 0
		.amdhsa_exception_int_div_zero 0
	.end_amdhsa_kernel
	.section	.text._ZL19k_bin_bcast_unravelIXadL_ZL6op_addffEE6__halffS0_JPKfS2_S2_S2_S2_S2_S2_S2_EEvPKT0_PKT1_PT2_15HIP_vector_typeIjLj3EESC_SC_jSC_SC_SC_SC_SC_SC_iiiiiiiiiiiDpT3_,"axG",@progbits,_ZL19k_bin_bcast_unravelIXadL_ZL6op_addffEE6__halffS0_JPKfS2_S2_S2_S2_S2_S2_S2_EEvPKT0_PKT1_PT2_15HIP_vector_typeIjLj3EESC_SC_jSC_SC_SC_SC_SC_SC_iiiiiiiiiiiDpT3_,comdat
.Lfunc_end92:
	.size	_ZL19k_bin_bcast_unravelIXadL_ZL6op_addffEE6__halffS0_JPKfS2_S2_S2_S2_S2_S2_S2_EEvPKT0_PKT1_PT2_15HIP_vector_typeIjLj3EESC_SC_jSC_SC_SC_SC_SC_SC_iiiiiiiiiiiDpT3_, .Lfunc_end92-_ZL19k_bin_bcast_unravelIXadL_ZL6op_addffEE6__halffS0_JPKfS2_S2_S2_S2_S2_S2_S2_EEvPKT0_PKT1_PT2_15HIP_vector_typeIjLj3EESC_SC_jSC_SC_SC_SC_SC_SC_iiiiiiiiiiiDpT3_
                                        ; -- End function
	.set _ZL19k_bin_bcast_unravelIXadL_ZL6op_addffEE6__halffS0_JPKfS2_S2_S2_S2_S2_S2_S2_EEvPKT0_PKT1_PT2_15HIP_vector_typeIjLj3EESC_SC_jSC_SC_SC_SC_SC_SC_iiiiiiiiiiiDpT3_.num_vgpr, 17
	.set _ZL19k_bin_bcast_unravelIXadL_ZL6op_addffEE6__halffS0_JPKfS2_S2_S2_S2_S2_S2_S2_EEvPKT0_PKT1_PT2_15HIP_vector_typeIjLj3EESC_SC_jSC_SC_SC_SC_SC_SC_iiiiiiiiiiiDpT3_.num_agpr, 0
	.set _ZL19k_bin_bcast_unravelIXadL_ZL6op_addffEE6__halffS0_JPKfS2_S2_S2_S2_S2_S2_S2_EEvPKT0_PKT1_PT2_15HIP_vector_typeIjLj3EESC_SC_jSC_SC_SC_SC_SC_SC_iiiiiiiiiiiDpT3_.numbered_sgpr, 32
	.set _ZL19k_bin_bcast_unravelIXadL_ZL6op_addffEE6__halffS0_JPKfS2_S2_S2_S2_S2_S2_S2_EEvPKT0_PKT1_PT2_15HIP_vector_typeIjLj3EESC_SC_jSC_SC_SC_SC_SC_SC_iiiiiiiiiiiDpT3_.num_named_barrier, 0
	.set _ZL19k_bin_bcast_unravelIXadL_ZL6op_addffEE6__halffS0_JPKfS2_S2_S2_S2_S2_S2_S2_EEvPKT0_PKT1_PT2_15HIP_vector_typeIjLj3EESC_SC_jSC_SC_SC_SC_SC_SC_iiiiiiiiiiiDpT3_.private_seg_size, 0
	.set _ZL19k_bin_bcast_unravelIXadL_ZL6op_addffEE6__halffS0_JPKfS2_S2_S2_S2_S2_S2_S2_EEvPKT0_PKT1_PT2_15HIP_vector_typeIjLj3EESC_SC_jSC_SC_SC_SC_SC_SC_iiiiiiiiiiiDpT3_.uses_vcc, 1
	.set _ZL19k_bin_bcast_unravelIXadL_ZL6op_addffEE6__halffS0_JPKfS2_S2_S2_S2_S2_S2_S2_EEvPKT0_PKT1_PT2_15HIP_vector_typeIjLj3EESC_SC_jSC_SC_SC_SC_SC_SC_iiiiiiiiiiiDpT3_.uses_flat_scratch, 0
	.set _ZL19k_bin_bcast_unravelIXadL_ZL6op_addffEE6__halffS0_JPKfS2_S2_S2_S2_S2_S2_S2_EEvPKT0_PKT1_PT2_15HIP_vector_typeIjLj3EESC_SC_jSC_SC_SC_SC_SC_SC_iiiiiiiiiiiDpT3_.has_dyn_sized_stack, 0
	.set _ZL19k_bin_bcast_unravelIXadL_ZL6op_addffEE6__halffS0_JPKfS2_S2_S2_S2_S2_S2_S2_EEvPKT0_PKT1_PT2_15HIP_vector_typeIjLj3EESC_SC_jSC_SC_SC_SC_SC_SC_iiiiiiiiiiiDpT3_.has_recursion, 0
	.set _ZL19k_bin_bcast_unravelIXadL_ZL6op_addffEE6__halffS0_JPKfS2_S2_S2_S2_S2_S2_S2_EEvPKT0_PKT1_PT2_15HIP_vector_typeIjLj3EESC_SC_jSC_SC_SC_SC_SC_SC_iiiiiiiiiiiDpT3_.has_indirect_call, 0
	.section	.AMDGPU.csdata,"",@progbits
; Kernel info:
; codeLenInByte = 856
; TotalNumSgprs: 36
; NumVgprs: 17
; ScratchSize: 0
; MemoryBound: 0
; FloatMode: 240
; IeeeMode: 1
; LDSByteSize: 0 bytes/workgroup (compile time only)
; SGPRBlocks: 4
; VGPRBlocks: 4
; NumSGPRsForWavesPerEU: 36
; NumVGPRsForWavesPerEU: 17
; Occupancy: 10
; WaveLimiterHint : 1
; COMPUTE_PGM_RSRC2:SCRATCH_EN: 0
; COMPUTE_PGM_RSRC2:USER_SGPR: 6
; COMPUTE_PGM_RSRC2:TRAP_HANDLER: 0
; COMPUTE_PGM_RSRC2:TGID_X_EN: 1
; COMPUTE_PGM_RSRC2:TGID_Y_EN: 0
; COMPUTE_PGM_RSRC2:TGID_Z_EN: 0
; COMPUTE_PGM_RSRC2:TIDIG_COMP_CNT: 0
	.section	.text._ZL11k_bin_bcastIXadL_ZL6op_addffEE6__halffS0_JPKfS2_S2_S2_S2_S2_S2_S2_EEvPKT0_PKT1_PT2_iii15HIP_vector_typeIjLj3EESC_SC_SC_SC_iiiiiiiiiiiDpT3_,"axG",@progbits,_ZL11k_bin_bcastIXadL_ZL6op_addffEE6__halffS0_JPKfS2_S2_S2_S2_S2_S2_S2_EEvPKT0_PKT1_PT2_iii15HIP_vector_typeIjLj3EESC_SC_SC_SC_iiiiiiiiiiiDpT3_,comdat
	.globl	_ZL11k_bin_bcastIXadL_ZL6op_addffEE6__halffS0_JPKfS2_S2_S2_S2_S2_S2_S2_EEvPKT0_PKT1_PT2_iii15HIP_vector_typeIjLj3EESC_SC_SC_SC_iiiiiiiiiiiDpT3_ ; -- Begin function _ZL11k_bin_bcastIXadL_ZL6op_addffEE6__halffS0_JPKfS2_S2_S2_S2_S2_S2_S2_EEvPKT0_PKT1_PT2_iii15HIP_vector_typeIjLj3EESC_SC_SC_SC_iiiiiiiiiiiDpT3_
	.p2align	8
	.type	_ZL11k_bin_bcastIXadL_ZL6op_addffEE6__halffS0_JPKfS2_S2_S2_S2_S2_S2_S2_EEvPKT0_PKT1_PT2_iii15HIP_vector_typeIjLj3EESC_SC_SC_SC_iiiiiiiiiiiDpT3_,@function
_ZL11k_bin_bcastIXadL_ZL6op_addffEE6__halffS0_JPKfS2_S2_S2_S2_S2_S2_S2_EEvPKT0_PKT1_PT2_iii15HIP_vector_typeIjLj3EESC_SC_SC_SC_iiiiiiiiiiiDpT3_: ; @_ZL11k_bin_bcastIXadL_ZL6op_addffEE6__halffS0_JPKfS2_S2_S2_S2_S2_S2_S2_EEvPKT0_PKT1_PT2_iii15HIP_vector_typeIjLj3EESC_SC_SC_SC_iiiiiiiiiiiDpT3_
; %bb.0:
	s_load_dwordx2 s[0:1], s[4:5], 0xdc
	s_load_dwordx8 s[24:31], s[4:5], 0x18
	s_add_u32 s2, s4, 0xd0
	s_addc_u32 s3, s5, 0
	s_waitcnt lgkmcnt(0)
	s_and_b32 s1, s1, 0xffff
	s_mul_i32 s8, s8, s1
	v_add_u32_e32 v3, s8, v2
	v_mul_hi_u32 v2, v3, s27
	s_lshr_b32 s1, s0, 16
	s_and_b32 s27, s0, 0xffff
	s_mul_i32 s6, s6, s27
	v_add_u32_e32 v2, v3, v2
	v_lshrrev_b32_e32 v2, s28, v2
	v_mul_lo_u32 v4, v2, s29
	s_mul_i32 s7, s7, s1
	v_add_u32_e32 v0, s6, v0
	v_add_u32_e32 v1, s7, v1
	v_cmp_gt_u32_e32 vcc, s24, v0
	v_cmp_gt_u32_e64 s[0:1], s25, v1
	v_sub_u32_e32 v3, v3, v4
	s_and_b64 s[0:1], vcc, s[0:1]
	v_cmp_gt_u32_e32 vcc, s26, v2
	s_and_b64 s[0:1], s[0:1], vcc
	v_cmp_gt_u32_e32 vcc, s29, v3
	s_and_b64 s[0:1], s[0:1], vcc
	s_and_saveexec_b64 s[6:7], s[0:1]
	s_cbranch_execz .LBB93_6
; %bb.1:
	v_cmp_gt_i32_e32 vcc, s24, v0
	s_and_b64 exec, exec, vcc
	s_cbranch_execz .LBB93_6
; %bb.2:
	s_load_dwordx8 s[8:15], s[4:5], 0x3c
	s_load_dwordx8 s[36:43], s[4:5], 0x60
	s_load_dwordx4 s[16:19], s[4:5], 0x80
	s_load_dword s6, s[2:3], 0x0
	s_load_dword s0, s[4:5], 0x5c
	s_waitcnt lgkmcnt(0)
	v_mul_hi_u32 v4, s8, v1
	v_mul_hi_u32 v5, s11, v2
	;; [unrolled: 1-line block ×3, first 2 shown]
	v_mul_lo_u32 v7, v3, s42
	v_add_u32_e32 v4, v1, v4
	v_add_u32_e32 v5, v2, v5
	;; [unrolled: 1-line block ×3, first 2 shown]
	v_lshrrev_b32_e32 v4, s9, v4
	v_lshrrev_b32_e32 v5, s12, v5
	v_lshrrev_b32_e32 v6, s15, v6
	v_mul_lo_u32 v4, v4, s10
	v_mul_lo_u32 v5, v5, s13
	;; [unrolled: 1-line block ×5, first 2 shown]
	v_sub_u32_e32 v4, v1, v4
	v_sub_u32_e32 v5, v2, v5
	;; [unrolled: 1-line block ×3, first 2 shown]
	s_load_dword s7, s[4:5], 0x38
	s_load_dwordx2 s[0:1], s[4:5], 0x0
	s_load_dwordx2 s[2:3], s[4:5], 0x10
	v_mul_lo_u32 v6, v6, s18
	v_mul_lo_u32 v5, v5, s17
	;; [unrolled: 1-line block ×6, first 2 shown]
	v_add3_u32 v1, v8, v9, v7
	v_mov_b32_e32 v2, 0
	v_mov_b32_e32 v8, v2
	v_lshlrev_b64 v[1:2], 1, v[1:2]
	v_add3_u32 v4, v5, v6, v4
	v_add3_u32 v7, v10, v11, v3
	s_waitcnt lgkmcnt(0)
	v_mov_b32_e32 v3, s1
	v_add_co_u32_e32 v5, vcc, s0, v1
	v_addc_co_u32_e32 v6, vcc, v3, v2, vcc
	v_lshlrev_b64 v[1:2], 1, v[7:8]
	s_load_dwordx16 s[8:23], s[4:5], 0x90
	v_mov_b32_e32 v3, s3
	v_add_co_u32_e32 v7, vcc, s2, v1
	v_addc_co_u32_e32 v8, vcc, v3, v2, vcc
	s_cmp_lg_u64 s[0:1], 0
	v_mul_lo_u32 v2, s39, v0
	s_cselect_b64 s[0:1], -1, 0
	s_mul_i32 s4, s6, s27
	v_cndmask_b32_e64 v1, 0, 1, s[0:1]
	s_mov_b64 s[2:3], 0
	s_mul_i32 s5, s4, s39
	s_sub_i32 s6, 0, s7
	s_waitcnt lgkmcnt(0)
	v_mov_b32_e32 v9, s9
	v_mov_b32_e32 v10, s11
	;; [unrolled: 1-line block ×4, first 2 shown]
	v_cmp_ne_u32_e64 s[0:1], 1, v1
	v_mov_b32_e32 v13, s17
	v_mov_b32_e32 v14, s19
	;; [unrolled: 1-line block ×4, first 2 shown]
	s_branch .LBB93_4
.LBB93_3:                               ;   in Loop: Header=BB93_4 Depth=1
	v_mul_hi_u32 v1, s30, v0
	v_add_u32_e32 v2, s5, v2
	v_add_u32_e32 v1, v0, v1
	v_lshrrev_b32_e32 v1, s31, v1
	v_mad_u64_u32 v[17:18], s[26:27], s6, v1, v[0:1]
	v_mul_lo_u32 v1, v17, s43
	v_add_co_u32_e32 v17, vcc, v1, v4
	v_addc_co_u32_e64 v18, s[26:27], 0, 0, vcc
	v_lshlrev_b64 v[17:18], 2, v[17:18]
	v_ashrrev_i32_e32 v1, 31, v0
	v_add_co_u32_e32 v19, vcc, s8, v17
	v_addc_co_u32_e32 v20, vcc, v9, v18, vcc
	v_add_co_u32_e32 v21, vcc, s10, v17
	v_addc_co_u32_e32 v22, vcc, v10, v18, vcc
	;; [unrolled: 2-line block ×8, first 2 shown]
	global_load_dword v19, v[19:20], off
	s_nop 0
	global_load_dword v20, v[21:22], off
	s_nop 0
	global_load_dword v21, v[23:24], off
	global_load_dword v22, v[25:26], off
                                        ; kill: killed $vgpr23 killed $vgpr24
                                        ; kill: killed $vgpr25 killed $vgpr26
	s_nop 0
	global_load_dword v23, v[27:28], off
	global_load_dword v24, v[29:30], off
	;; [unrolled: 1-line block ×4, first 2 shown]
	v_lshlrev_b64 v[17:18], 1, v[0:1]
	v_add_u32_e32 v0, s4, v0
	v_cmp_le_i32_e32 vcc, s24, v0
	s_or_b64 s[2:3], vcc, s[2:3]
	v_add_co_u32_e32 v17, vcc, v7, v17
	v_addc_co_u32_e32 v18, vcc, v8, v18, vcc
	s_waitcnt vmcnt(7)
	v_add_f32_e32 v1, v3, v19
	s_waitcnt vmcnt(6)
	v_add_f32_e32 v1, v1, v20
	s_waitcnt vmcnt(5)
	v_add_f32_e32 v1, v1, v21
	s_waitcnt vmcnt(4)
	v_add_f32_e32 v1, v1, v22
	s_waitcnt vmcnt(3)
	v_add_f32_e32 v1, v1, v23
	s_waitcnt vmcnt(2)
	v_add_f32_e32 v1, v1, v24
	s_waitcnt vmcnt(1)
	v_add_f32_e32 v1, v1, v25
	s_waitcnt vmcnt(0)
	v_add_f32_e32 v1, v1, v26
	v_cvt_f16_f32_e32 v1, v1
	global_store_short v[17:18], v1, off
	s_andn2_b64 exec, exec, s[2:3]
	s_cbranch_execz .LBB93_6
.LBB93_4:                               ; =>This Inner Loop Header: Depth=1
	s_and_b64 vcc, exec, s[0:1]
	v_mov_b32_e32 v3, 0
	s_cbranch_vccnz .LBB93_3
; %bb.5:                                ;   in Loop: Header=BB93_4 Depth=1
	v_ashrrev_i32_e32 v3, 31, v2
	v_lshlrev_b64 v[17:18], 1, v[2:3]
	v_add_co_u32_e32 v17, vcc, v5, v17
	v_addc_co_u32_e32 v18, vcc, v6, v18, vcc
	global_load_ushort v1, v[17:18], off
	s_waitcnt vmcnt(0)
	v_cvt_f32_f16_e32 v3, v1
	s_branch .LBB93_3
.LBB93_6:
	s_endpgm
	.section	.rodata,"a",@progbits
	.p2align	6, 0x0
	.amdhsa_kernel _ZL11k_bin_bcastIXadL_ZL6op_addffEE6__halffS0_JPKfS2_S2_S2_S2_S2_S2_S2_EEvPKT0_PKT1_PT2_iii15HIP_vector_typeIjLj3EESC_SC_SC_SC_iiiiiiiiiiiDpT3_
		.amdhsa_group_segment_fixed_size 0
		.amdhsa_private_segment_fixed_size 0
		.amdhsa_kernarg_size 464
		.amdhsa_user_sgpr_count 6
		.amdhsa_user_sgpr_private_segment_buffer 1
		.amdhsa_user_sgpr_dispatch_ptr 0
		.amdhsa_user_sgpr_queue_ptr 0
		.amdhsa_user_sgpr_kernarg_segment_ptr 1
		.amdhsa_user_sgpr_dispatch_id 0
		.amdhsa_user_sgpr_flat_scratch_init 0
		.amdhsa_user_sgpr_private_segment_size 0
		.amdhsa_uses_dynamic_stack 0
		.amdhsa_system_sgpr_private_segment_wavefront_offset 0
		.amdhsa_system_sgpr_workgroup_id_x 1
		.amdhsa_system_sgpr_workgroup_id_y 1
		.amdhsa_system_sgpr_workgroup_id_z 1
		.amdhsa_system_sgpr_workgroup_info 0
		.amdhsa_system_vgpr_workitem_id 2
		.amdhsa_next_free_vgpr 33
		.amdhsa_next_free_sgpr 44
		.amdhsa_reserve_vcc 1
		.amdhsa_reserve_flat_scratch 0
		.amdhsa_float_round_mode_32 0
		.amdhsa_float_round_mode_16_64 0
		.amdhsa_float_denorm_mode_32 3
		.amdhsa_float_denorm_mode_16_64 3
		.amdhsa_dx10_clamp 1
		.amdhsa_ieee_mode 1
		.amdhsa_fp16_overflow 0
		.amdhsa_exception_fp_ieee_invalid_op 0
		.amdhsa_exception_fp_denorm_src 0
		.amdhsa_exception_fp_ieee_div_zero 0
		.amdhsa_exception_fp_ieee_overflow 0
		.amdhsa_exception_fp_ieee_underflow 0
		.amdhsa_exception_fp_ieee_inexact 0
		.amdhsa_exception_int_div_zero 0
	.end_amdhsa_kernel
	.section	.text._ZL11k_bin_bcastIXadL_ZL6op_addffEE6__halffS0_JPKfS2_S2_S2_S2_S2_S2_S2_EEvPKT0_PKT1_PT2_iii15HIP_vector_typeIjLj3EESC_SC_SC_SC_iiiiiiiiiiiDpT3_,"axG",@progbits,_ZL11k_bin_bcastIXadL_ZL6op_addffEE6__halffS0_JPKfS2_S2_S2_S2_S2_S2_S2_EEvPKT0_PKT1_PT2_iii15HIP_vector_typeIjLj3EESC_SC_SC_SC_iiiiiiiiiiiDpT3_,comdat
.Lfunc_end93:
	.size	_ZL11k_bin_bcastIXadL_ZL6op_addffEE6__halffS0_JPKfS2_S2_S2_S2_S2_S2_S2_EEvPKT0_PKT1_PT2_iii15HIP_vector_typeIjLj3EESC_SC_SC_SC_iiiiiiiiiiiDpT3_, .Lfunc_end93-_ZL11k_bin_bcastIXadL_ZL6op_addffEE6__halffS0_JPKfS2_S2_S2_S2_S2_S2_S2_EEvPKT0_PKT1_PT2_iii15HIP_vector_typeIjLj3EESC_SC_SC_SC_iiiiiiiiiiiDpT3_
                                        ; -- End function
	.set _ZL11k_bin_bcastIXadL_ZL6op_addffEE6__halffS0_JPKfS2_S2_S2_S2_S2_S2_S2_EEvPKT0_PKT1_PT2_iii15HIP_vector_typeIjLj3EESC_SC_SC_SC_iiiiiiiiiiiDpT3_.num_vgpr, 33
	.set _ZL11k_bin_bcastIXadL_ZL6op_addffEE6__halffS0_JPKfS2_S2_S2_S2_S2_S2_S2_EEvPKT0_PKT1_PT2_iii15HIP_vector_typeIjLj3EESC_SC_SC_SC_iiiiiiiiiiiDpT3_.num_agpr, 0
	.set _ZL11k_bin_bcastIXadL_ZL6op_addffEE6__halffS0_JPKfS2_S2_S2_S2_S2_S2_S2_EEvPKT0_PKT1_PT2_iii15HIP_vector_typeIjLj3EESC_SC_SC_SC_iiiiiiiiiiiDpT3_.numbered_sgpr, 44
	.set _ZL11k_bin_bcastIXadL_ZL6op_addffEE6__halffS0_JPKfS2_S2_S2_S2_S2_S2_S2_EEvPKT0_PKT1_PT2_iii15HIP_vector_typeIjLj3EESC_SC_SC_SC_iiiiiiiiiiiDpT3_.num_named_barrier, 0
	.set _ZL11k_bin_bcastIXadL_ZL6op_addffEE6__halffS0_JPKfS2_S2_S2_S2_S2_S2_S2_EEvPKT0_PKT1_PT2_iii15HIP_vector_typeIjLj3EESC_SC_SC_SC_iiiiiiiiiiiDpT3_.private_seg_size, 0
	.set _ZL11k_bin_bcastIXadL_ZL6op_addffEE6__halffS0_JPKfS2_S2_S2_S2_S2_S2_S2_EEvPKT0_PKT1_PT2_iii15HIP_vector_typeIjLj3EESC_SC_SC_SC_iiiiiiiiiiiDpT3_.uses_vcc, 1
	.set _ZL11k_bin_bcastIXadL_ZL6op_addffEE6__halffS0_JPKfS2_S2_S2_S2_S2_S2_S2_EEvPKT0_PKT1_PT2_iii15HIP_vector_typeIjLj3EESC_SC_SC_SC_iiiiiiiiiiiDpT3_.uses_flat_scratch, 0
	.set _ZL11k_bin_bcastIXadL_ZL6op_addffEE6__halffS0_JPKfS2_S2_S2_S2_S2_S2_S2_EEvPKT0_PKT1_PT2_iii15HIP_vector_typeIjLj3EESC_SC_SC_SC_iiiiiiiiiiiDpT3_.has_dyn_sized_stack, 0
	.set _ZL11k_bin_bcastIXadL_ZL6op_addffEE6__halffS0_JPKfS2_S2_S2_S2_S2_S2_S2_EEvPKT0_PKT1_PT2_iii15HIP_vector_typeIjLj3EESC_SC_SC_SC_iiiiiiiiiiiDpT3_.has_recursion, 0
	.set _ZL11k_bin_bcastIXadL_ZL6op_addffEE6__halffS0_JPKfS2_S2_S2_S2_S2_S2_S2_EEvPKT0_PKT1_PT2_iii15HIP_vector_typeIjLj3EESC_SC_SC_SC_iiiiiiiiiiiDpT3_.has_indirect_call, 0
	.section	.AMDGPU.csdata,"",@progbits
; Kernel info:
; codeLenInByte = 920
; TotalNumSgprs: 48
; NumVgprs: 33
; ScratchSize: 0
; MemoryBound: 0
; FloatMode: 240
; IeeeMode: 1
; LDSByteSize: 0 bytes/workgroup (compile time only)
; SGPRBlocks: 5
; VGPRBlocks: 8
; NumSGPRsForWavesPerEU: 48
; NumVGPRsForWavesPerEU: 33
; Occupancy: 7
; WaveLimiterHint : 1
; COMPUTE_PGM_RSRC2:SCRATCH_EN: 0
; COMPUTE_PGM_RSRC2:USER_SGPR: 6
; COMPUTE_PGM_RSRC2:TRAP_HANDLER: 0
; COMPUTE_PGM_RSRC2:TGID_X_EN: 1
; COMPUTE_PGM_RSRC2:TGID_Y_EN: 1
; COMPUTE_PGM_RSRC2:TGID_Z_EN: 1
; COMPUTE_PGM_RSRC2:TIDIG_COMP_CNT: 2
	.section	.text._ZL19k_bin_bcast_unravelIXadL_ZL6op_addffEE6__halfffJPKfS2_S2_S2_S2_S2_S2_S2_EEvPKT0_PKT1_PT2_15HIP_vector_typeIjLj3EESC_SC_jSC_SC_SC_SC_SC_SC_iiiiiiiiiiiDpT3_,"axG",@progbits,_ZL19k_bin_bcast_unravelIXadL_ZL6op_addffEE6__halfffJPKfS2_S2_S2_S2_S2_S2_S2_EEvPKT0_PKT1_PT2_15HIP_vector_typeIjLj3EESC_SC_jSC_SC_SC_SC_SC_SC_iiiiiiiiiiiDpT3_,comdat
	.globl	_ZL19k_bin_bcast_unravelIXadL_ZL6op_addffEE6__halfffJPKfS2_S2_S2_S2_S2_S2_S2_EEvPKT0_PKT1_PT2_15HIP_vector_typeIjLj3EESC_SC_jSC_SC_SC_SC_SC_SC_iiiiiiiiiiiDpT3_ ; -- Begin function _ZL19k_bin_bcast_unravelIXadL_ZL6op_addffEE6__halfffJPKfS2_S2_S2_S2_S2_S2_S2_EEvPKT0_PKT1_PT2_15HIP_vector_typeIjLj3EESC_SC_jSC_SC_SC_SC_SC_SC_iiiiiiiiiiiDpT3_
	.p2align	8
	.type	_ZL19k_bin_bcast_unravelIXadL_ZL6op_addffEE6__halfffJPKfS2_S2_S2_S2_S2_S2_S2_EEvPKT0_PKT1_PT2_15HIP_vector_typeIjLj3EESC_SC_jSC_SC_SC_SC_SC_SC_iiiiiiiiiiiDpT3_,@function
_ZL19k_bin_bcast_unravelIXadL_ZL6op_addffEE6__halfffJPKfS2_S2_S2_S2_S2_S2_S2_EEvPKT0_PKT1_PT2_15HIP_vector_typeIjLj3EESC_SC_jSC_SC_SC_SC_SC_SC_iiiiiiiiiiiDpT3_: ; @_ZL19k_bin_bcast_unravelIXadL_ZL6op_addffEE6__halfffJPKfS2_S2_S2_S2_S2_S2_S2_EEvPKT0_PKT1_PT2_15HIP_vector_typeIjLj3EESC_SC_jSC_SC_SC_SC_SC_SC_iiiiiiiiiiiDpT3_
; %bb.0:
	s_load_dword s0, s[4:5], 0x104
	s_load_dwordx8 s[8:15], s[4:5], 0x38
	s_waitcnt lgkmcnt(0)
	s_and_b32 s0, s0, 0xffff
	s_mul_i32 s6, s6, s0
	v_add_u32_e32 v0, s6, v0
	v_mul_hi_u32 v1, v0, s10
	s_load_dwordx4 s[0:3], s[4:5], 0x18
	s_waitcnt lgkmcnt(0)
	s_load_dword s3, s[4:5], 0x2c
	v_add_u32_e32 v1, v0, v1
	v_lshrrev_b32_e32 v1, s11, v1
	v_mul_lo_u32 v2, v1, s12
	v_sub_u32_e32 v0, v0, v2
	v_mul_hi_u32 v2, v0, s13
	v_add_u32_e32 v2, v0, v2
	v_lshrrev_b32_e32 v3, s14, v2
	v_mul_lo_u32 v2, v3, s15
	v_cmp_gt_u32_e32 vcc, s8, v3
	v_sub_u32_e32 v0, v0, v2
	v_mul_hi_u32 v2, v0, s0
	v_add_u32_e32 v2, v0, v2
	v_lshrrev_b32_e32 v4, s1, v2
	v_mul_lo_u32 v2, v4, s2
	s_waitcnt lgkmcnt(0)
	v_cmp_gt_u32_e64 s[0:1], s3, v4
	v_sub_u32_e32 v0, v0, v2
	v_cmp_gt_u32_e64 s[2:3], s2, v0
	s_and_b64 s[0:1], s[2:3], s[0:1]
	s_and_b64 s[0:1], s[0:1], vcc
	v_cmp_gt_u32_e32 vcc, s9, v1
	s_and_b64 s[0:1], vcc, s[0:1]
	s_and_saveexec_b64 s[2:3], s[0:1]
	s_cbranch_execz .LBB94_4
; %bb.1:
	s_load_dwordx2 s[6:7], s[4:5], 0x0
	s_load_dwordx4 s[0:3], s[4:5], 0xa8
	s_load_dwordx8 s[24:31], s[4:5], 0x88
	s_load_dwordx4 s[16:19], s[4:5], 0x78
	s_load_dwordx8 s[8:15], s[4:5], 0x58
	v_mov_b32_e32 v2, 0
	s_waitcnt lgkmcnt(0)
	s_cmp_eq_u64 s[6:7], 0
	v_mov_b32_e32 v5, 0
	s_cbranch_scc1 .LBB94_3
; %bb.2:
	v_mul_lo_u32 v5, v1, s30
	v_mul_lo_u32 v7, v3, s29
	;; [unrolled: 1-line block ×3, first 2 shown]
	v_mov_b32_e32 v6, 0
	v_mov_b32_e32 v9, s7
	v_add3_u32 v5, v7, v5, v8
	v_lshlrev_b64 v[7:8], 1, v[5:6]
	v_mul_lo_u32 v5, v0, s27
	v_add_co_u32_e32 v7, vcc, s6, v7
	v_addc_co_u32_e32 v8, vcc, v9, v8, vcc
	v_lshlrev_b64 v[5:6], 1, v[5:6]
	v_add_co_u32_e32 v5, vcc, v7, v5
	v_addc_co_u32_e32 v6, vcc, v8, v6, vcc
	global_load_ushort v5, v[5:6], off
	s_waitcnt vmcnt(0)
	v_cvt_f32_f16_e32 v5, v5
.LBB94_3:
	v_mul_hi_u32 v6, s11, v4
	v_mul_hi_u32 v7, s14, v3
	;; [unrolled: 1-line block ×4, first 2 shown]
	v_add_u32_e32 v6, v4, v6
	v_add_u32_e32 v7, v3, v7
	;; [unrolled: 1-line block ×3, first 2 shown]
	v_lshrrev_b32_e32 v6, s12, v6
	v_lshrrev_b32_e32 v7, s15, v7
	;; [unrolled: 1-line block ×3, first 2 shown]
	v_add_u32_e32 v9, v0, v9
	v_mul_lo_u32 v6, v6, s13
	v_mul_lo_u32 v7, v7, s16
	;; [unrolled: 1-line block ×3, first 2 shown]
	v_lshrrev_b32_e32 v9, s9, v9
	v_mul_lo_u32 v9, v9, s10
	v_sub_u32_e32 v6, v4, v6
	v_sub_u32_e32 v7, v3, v7
	;; [unrolled: 1-line block ×3, first 2 shown]
	v_mul_lo_u32 v8, v8, s2
	v_mul_lo_u32 v7, v7, s1
	;; [unrolled: 1-line block ×3, first 2 shown]
	v_sub_u32_e32 v9, v0, v9
	v_mul_lo_u32 v9, v9, s31
	s_load_dwordx16 s[8:23], s[4:5], 0xb8
	v_add3_u32 v6, v7, v8, v6
	v_ashrrev_i32_e32 v7, 31, v6
	v_ashrrev_i32_e32 v8, 31, v9
	v_add_co_u32_e32 v6, vcc, v9, v6
	v_addc_co_u32_e32 v7, vcc, v8, v7, vcc
	v_lshlrev_b64 v[6:7], 2, v[6:7]
	s_waitcnt lgkmcnt(0)
	v_mov_b32_e32 v9, s9
	v_add_co_u32_e32 v8, vcc, s8, v6
	v_addc_co_u32_e32 v9, vcc, v9, v7, vcc
	global_load_dword v10, v[8:9], off
	v_mov_b32_e32 v9, s11
	v_add_co_u32_e32 v8, vcc, s10, v6
	v_addc_co_u32_e32 v9, vcc, v9, v7, vcc
	global_load_dword v11, v[8:9], off
	;; [unrolled: 4-line block ×8, first 2 shown]
	v_mul_lo_u32 v7, v1, s26
	v_mul_lo_u32 v9, v3, s25
	;; [unrolled: 1-line block ×3, first 2 shown]
	s_load_dwordx2 s[0:1], s[4:5], 0x10
	v_mov_b32_e32 v1, v2
	v_lshlrev_b64 v[3:4], 2, v[0:1]
	v_add3_u32 v1, v9, v7, v16
	v_lshlrev_b64 v[0:1], 2, v[1:2]
	s_waitcnt lgkmcnt(0)
	v_mov_b32_e32 v2, s1
	v_add_co_u32_e32 v0, vcc, s0, v0
	v_addc_co_u32_e32 v1, vcc, v2, v1, vcc
	v_add_co_u32_e32 v0, vcc, v0, v3
	v_addc_co_u32_e32 v1, vcc, v1, v4, vcc
	s_waitcnt vmcnt(7)
	v_add_f32_e32 v2, v5, v10
	s_waitcnt vmcnt(6)
	v_add_f32_e32 v2, v2, v11
	;; [unrolled: 2-line block ×8, first 2 shown]
	global_store_dword v[0:1], v2, off
.LBB94_4:
	s_endpgm
	.section	.rodata,"a",@progbits
	.p2align	6, 0x0
	.amdhsa_kernel _ZL19k_bin_bcast_unravelIXadL_ZL6op_addffEE6__halfffJPKfS2_S2_S2_S2_S2_S2_S2_EEvPKT0_PKT1_PT2_15HIP_vector_typeIjLj3EESC_SC_jSC_SC_SC_SC_SC_SC_iiiiiiiiiiiDpT3_
		.amdhsa_group_segment_fixed_size 0
		.amdhsa_private_segment_fixed_size 0
		.amdhsa_kernarg_size 504
		.amdhsa_user_sgpr_count 6
		.amdhsa_user_sgpr_private_segment_buffer 1
		.amdhsa_user_sgpr_dispatch_ptr 0
		.amdhsa_user_sgpr_queue_ptr 0
		.amdhsa_user_sgpr_kernarg_segment_ptr 1
		.amdhsa_user_sgpr_dispatch_id 0
		.amdhsa_user_sgpr_flat_scratch_init 0
		.amdhsa_user_sgpr_private_segment_size 0
		.amdhsa_uses_dynamic_stack 0
		.amdhsa_system_sgpr_private_segment_wavefront_offset 0
		.amdhsa_system_sgpr_workgroup_id_x 1
		.amdhsa_system_sgpr_workgroup_id_y 0
		.amdhsa_system_sgpr_workgroup_id_z 0
		.amdhsa_system_sgpr_workgroup_info 0
		.amdhsa_system_vgpr_workitem_id 0
		.amdhsa_next_free_vgpr 17
		.amdhsa_next_free_sgpr 32
		.amdhsa_reserve_vcc 1
		.amdhsa_reserve_flat_scratch 0
		.amdhsa_float_round_mode_32 0
		.amdhsa_float_round_mode_16_64 0
		.amdhsa_float_denorm_mode_32 3
		.amdhsa_float_denorm_mode_16_64 3
		.amdhsa_dx10_clamp 1
		.amdhsa_ieee_mode 1
		.amdhsa_fp16_overflow 0
		.amdhsa_exception_fp_ieee_invalid_op 0
		.amdhsa_exception_fp_denorm_src 0
		.amdhsa_exception_fp_ieee_div_zero 0
		.amdhsa_exception_fp_ieee_overflow 0
		.amdhsa_exception_fp_ieee_underflow 0
		.amdhsa_exception_fp_ieee_inexact 0
		.amdhsa_exception_int_div_zero 0
	.end_amdhsa_kernel
	.section	.text._ZL19k_bin_bcast_unravelIXadL_ZL6op_addffEE6__halfffJPKfS2_S2_S2_S2_S2_S2_S2_EEvPKT0_PKT1_PT2_15HIP_vector_typeIjLj3EESC_SC_jSC_SC_SC_SC_SC_SC_iiiiiiiiiiiDpT3_,"axG",@progbits,_ZL19k_bin_bcast_unravelIXadL_ZL6op_addffEE6__halfffJPKfS2_S2_S2_S2_S2_S2_S2_EEvPKT0_PKT1_PT2_15HIP_vector_typeIjLj3EESC_SC_jSC_SC_SC_SC_SC_SC_iiiiiiiiiiiDpT3_,comdat
.Lfunc_end94:
	.size	_ZL19k_bin_bcast_unravelIXadL_ZL6op_addffEE6__halfffJPKfS2_S2_S2_S2_S2_S2_S2_EEvPKT0_PKT1_PT2_15HIP_vector_typeIjLj3EESC_SC_jSC_SC_SC_SC_SC_SC_iiiiiiiiiiiDpT3_, .Lfunc_end94-_ZL19k_bin_bcast_unravelIXadL_ZL6op_addffEE6__halfffJPKfS2_S2_S2_S2_S2_S2_S2_EEvPKT0_PKT1_PT2_15HIP_vector_typeIjLj3EESC_SC_jSC_SC_SC_SC_SC_SC_iiiiiiiiiiiDpT3_
                                        ; -- End function
	.set _ZL19k_bin_bcast_unravelIXadL_ZL6op_addffEE6__halfffJPKfS2_S2_S2_S2_S2_S2_S2_EEvPKT0_PKT1_PT2_15HIP_vector_typeIjLj3EESC_SC_jSC_SC_SC_SC_SC_SC_iiiiiiiiiiiDpT3_.num_vgpr, 17
	.set _ZL19k_bin_bcast_unravelIXadL_ZL6op_addffEE6__halfffJPKfS2_S2_S2_S2_S2_S2_S2_EEvPKT0_PKT1_PT2_15HIP_vector_typeIjLj3EESC_SC_jSC_SC_SC_SC_SC_SC_iiiiiiiiiiiDpT3_.num_agpr, 0
	.set _ZL19k_bin_bcast_unravelIXadL_ZL6op_addffEE6__halfffJPKfS2_S2_S2_S2_S2_S2_S2_EEvPKT0_PKT1_PT2_15HIP_vector_typeIjLj3EESC_SC_jSC_SC_SC_SC_SC_SC_iiiiiiiiiiiDpT3_.numbered_sgpr, 32
	.set _ZL19k_bin_bcast_unravelIXadL_ZL6op_addffEE6__halfffJPKfS2_S2_S2_S2_S2_S2_S2_EEvPKT0_PKT1_PT2_15HIP_vector_typeIjLj3EESC_SC_jSC_SC_SC_SC_SC_SC_iiiiiiiiiiiDpT3_.num_named_barrier, 0
	.set _ZL19k_bin_bcast_unravelIXadL_ZL6op_addffEE6__halfffJPKfS2_S2_S2_S2_S2_S2_S2_EEvPKT0_PKT1_PT2_15HIP_vector_typeIjLj3EESC_SC_jSC_SC_SC_SC_SC_SC_iiiiiiiiiiiDpT3_.private_seg_size, 0
	.set _ZL19k_bin_bcast_unravelIXadL_ZL6op_addffEE6__halfffJPKfS2_S2_S2_S2_S2_S2_S2_EEvPKT0_PKT1_PT2_15HIP_vector_typeIjLj3EESC_SC_jSC_SC_SC_SC_SC_SC_iiiiiiiiiiiDpT3_.uses_vcc, 1
	.set _ZL19k_bin_bcast_unravelIXadL_ZL6op_addffEE6__halfffJPKfS2_S2_S2_S2_S2_S2_S2_EEvPKT0_PKT1_PT2_15HIP_vector_typeIjLj3EESC_SC_jSC_SC_SC_SC_SC_SC_iiiiiiiiiiiDpT3_.uses_flat_scratch, 0
	.set _ZL19k_bin_bcast_unravelIXadL_ZL6op_addffEE6__halfffJPKfS2_S2_S2_S2_S2_S2_S2_EEvPKT0_PKT1_PT2_15HIP_vector_typeIjLj3EESC_SC_jSC_SC_SC_SC_SC_SC_iiiiiiiiiiiDpT3_.has_dyn_sized_stack, 0
	.set _ZL19k_bin_bcast_unravelIXadL_ZL6op_addffEE6__halfffJPKfS2_S2_S2_S2_S2_S2_S2_EEvPKT0_PKT1_PT2_15HIP_vector_typeIjLj3EESC_SC_jSC_SC_SC_SC_SC_SC_iiiiiiiiiiiDpT3_.has_recursion, 0
	.set _ZL19k_bin_bcast_unravelIXadL_ZL6op_addffEE6__halfffJPKfS2_S2_S2_S2_S2_S2_S2_EEvPKT0_PKT1_PT2_15HIP_vector_typeIjLj3EESC_SC_jSC_SC_SC_SC_SC_SC_iiiiiiiiiiiDpT3_.has_indirect_call, 0
	.section	.AMDGPU.csdata,"",@progbits
; Kernel info:
; codeLenInByte = 852
; TotalNumSgprs: 36
; NumVgprs: 17
; ScratchSize: 0
; MemoryBound: 0
; FloatMode: 240
; IeeeMode: 1
; LDSByteSize: 0 bytes/workgroup (compile time only)
; SGPRBlocks: 4
; VGPRBlocks: 4
; NumSGPRsForWavesPerEU: 36
; NumVGPRsForWavesPerEU: 17
; Occupancy: 10
; WaveLimiterHint : 1
; COMPUTE_PGM_RSRC2:SCRATCH_EN: 0
; COMPUTE_PGM_RSRC2:USER_SGPR: 6
; COMPUTE_PGM_RSRC2:TRAP_HANDLER: 0
; COMPUTE_PGM_RSRC2:TGID_X_EN: 1
; COMPUTE_PGM_RSRC2:TGID_Y_EN: 0
; COMPUTE_PGM_RSRC2:TGID_Z_EN: 0
; COMPUTE_PGM_RSRC2:TIDIG_COMP_CNT: 0
	.section	.text._ZL11k_bin_bcastIXadL_ZL6op_addffEE6__halfffJPKfS2_S2_S2_S2_S2_S2_S2_EEvPKT0_PKT1_PT2_iii15HIP_vector_typeIjLj3EESC_SC_SC_SC_iiiiiiiiiiiDpT3_,"axG",@progbits,_ZL11k_bin_bcastIXadL_ZL6op_addffEE6__halfffJPKfS2_S2_S2_S2_S2_S2_S2_EEvPKT0_PKT1_PT2_iii15HIP_vector_typeIjLj3EESC_SC_SC_SC_iiiiiiiiiiiDpT3_,comdat
	.globl	_ZL11k_bin_bcastIXadL_ZL6op_addffEE6__halfffJPKfS2_S2_S2_S2_S2_S2_S2_EEvPKT0_PKT1_PT2_iii15HIP_vector_typeIjLj3EESC_SC_SC_SC_iiiiiiiiiiiDpT3_ ; -- Begin function _ZL11k_bin_bcastIXadL_ZL6op_addffEE6__halfffJPKfS2_S2_S2_S2_S2_S2_S2_EEvPKT0_PKT1_PT2_iii15HIP_vector_typeIjLj3EESC_SC_SC_SC_iiiiiiiiiiiDpT3_
	.p2align	8
	.type	_ZL11k_bin_bcastIXadL_ZL6op_addffEE6__halfffJPKfS2_S2_S2_S2_S2_S2_S2_EEvPKT0_PKT1_PT2_iii15HIP_vector_typeIjLj3EESC_SC_SC_SC_iiiiiiiiiiiDpT3_,@function
_ZL11k_bin_bcastIXadL_ZL6op_addffEE6__halfffJPKfS2_S2_S2_S2_S2_S2_S2_EEvPKT0_PKT1_PT2_iii15HIP_vector_typeIjLj3EESC_SC_SC_SC_iiiiiiiiiiiDpT3_: ; @_ZL11k_bin_bcastIXadL_ZL6op_addffEE6__halfffJPKfS2_S2_S2_S2_S2_S2_S2_EEvPKT0_PKT1_PT2_iii15HIP_vector_typeIjLj3EESC_SC_SC_SC_iiiiiiiiiiiDpT3_
; %bb.0:
	s_load_dwordx2 s[0:1], s[4:5], 0xdc
	s_load_dwordx8 s[24:31], s[4:5], 0x18
	s_add_u32 s2, s4, 0xd0
	s_addc_u32 s3, s5, 0
	s_waitcnt lgkmcnt(0)
	s_and_b32 s1, s1, 0xffff
	s_mul_i32 s8, s8, s1
	v_add_u32_e32 v3, s8, v2
	v_mul_hi_u32 v2, v3, s27
	s_lshr_b32 s1, s0, 16
	s_and_b32 s27, s0, 0xffff
	s_mul_i32 s6, s6, s27
	v_add_u32_e32 v2, v3, v2
	v_lshrrev_b32_e32 v2, s28, v2
	v_mul_lo_u32 v4, v2, s29
	s_mul_i32 s7, s7, s1
	v_add_u32_e32 v0, s6, v0
	v_add_u32_e32 v1, s7, v1
	v_cmp_gt_u32_e32 vcc, s24, v0
	v_cmp_gt_u32_e64 s[0:1], s25, v1
	v_sub_u32_e32 v3, v3, v4
	s_and_b64 s[0:1], vcc, s[0:1]
	v_cmp_gt_u32_e32 vcc, s26, v2
	s_and_b64 s[0:1], s[0:1], vcc
	v_cmp_gt_u32_e32 vcc, s29, v3
	s_and_b64 s[0:1], s[0:1], vcc
	s_and_saveexec_b64 s[6:7], s[0:1]
	s_cbranch_execz .LBB95_6
; %bb.1:
	v_cmp_gt_i32_e32 vcc, s24, v0
	s_and_b64 exec, exec, vcc
	s_cbranch_execz .LBB95_6
; %bb.2:
	s_load_dwordx8 s[8:15], s[4:5], 0x3c
	s_load_dwordx8 s[36:43], s[4:5], 0x60
	s_load_dwordx4 s[16:19], s[4:5], 0x80
	s_load_dword s6, s[2:3], 0x0
	s_load_dword s0, s[4:5], 0x5c
	s_waitcnt lgkmcnt(0)
	v_mul_hi_u32 v4, s8, v1
	v_mul_hi_u32 v5, s11, v2
	;; [unrolled: 1-line block ×3, first 2 shown]
	v_mul_lo_u32 v7, v3, s42
	v_add_u32_e32 v4, v1, v4
	v_add_u32_e32 v5, v2, v5
	v_add_u32_e32 v6, v3, v6
	v_lshrrev_b32_e32 v4, s9, v4
	v_lshrrev_b32_e32 v5, s12, v5
	;; [unrolled: 1-line block ×3, first 2 shown]
	v_mul_lo_u32 v4, v4, s10
	v_mul_lo_u32 v5, v5, s13
	v_mul_lo_u32 v6, v6, s0
	v_mul_lo_u32 v8, v2, s41
	v_mul_lo_u32 v9, v1, s40
	v_sub_u32_e32 v4, v1, v4
	v_sub_u32_e32 v5, v2, v5
	v_sub_u32_e32 v6, v3, v6
	s_load_dword s25, s[4:5], 0x38
	s_load_dwordx2 s[0:1], s[4:5], 0x0
	s_load_dwordx2 s[2:3], s[4:5], 0x10
	v_mul_lo_u32 v6, v6, s18
	v_mul_lo_u32 v5, v5, s17
	;; [unrolled: 1-line block ×6, first 2 shown]
	v_add3_u32 v1, v8, v9, v7
	v_mov_b32_e32 v2, 0
	v_mov_b32_e32 v8, v2
	v_lshlrev_b64 v[1:2], 1, v[1:2]
	v_add3_u32 v4, v5, v6, v4
	v_add3_u32 v7, v10, v11, v3
	s_waitcnt lgkmcnt(0)
	v_mov_b32_e32 v3, s1
	v_add_co_u32_e32 v5, vcc, s0, v1
	v_addc_co_u32_e32 v6, vcc, v3, v2, vcc
	v_lshlrev_b64 v[1:2], 2, v[7:8]
	s_load_dwordx16 s[8:23], s[4:5], 0x90
	v_mov_b32_e32 v3, s3
	v_add_co_u32_e32 v7, vcc, s2, v1
	v_addc_co_u32_e32 v8, vcc, v3, v2, vcc
	s_cmp_lg_u64 s[0:1], 0
	v_mul_lo_u32 v2, s39, v0
	s_cselect_b64 s[0:1], -1, 0
	s_mul_i32 s6, s6, s27
	v_cndmask_b32_e64 v1, 0, 1, s[0:1]
	s_mov_b64 s[4:5], 0
	s_mul_i32 s7, s6, s39
	s_sub_i32 s25, 0, s25
	s_waitcnt lgkmcnt(0)
	v_mov_b32_e32 v9, s9
	v_mov_b32_e32 v10, s11
	;; [unrolled: 1-line block ×4, first 2 shown]
	v_cmp_ne_u32_e64 s[0:1], 1, v1
	v_mov_b32_e32 v13, s17
	v_mov_b32_e32 v14, s19
	;; [unrolled: 1-line block ×4, first 2 shown]
	s_branch .LBB95_4
.LBB95_3:                               ;   in Loop: Header=BB95_4 Depth=1
	v_mul_hi_u32 v1, s30, v0
	v_add_u32_e32 v2, s7, v2
	v_add_u32_e32 v1, v0, v1
	v_lshrrev_b32_e32 v1, s31, v1
	v_mad_u64_u32 v[17:18], s[2:3], s25, v1, v[0:1]
	v_mul_lo_u32 v1, v17, s43
	v_add_co_u32_e32 v17, vcc, v1, v4
	v_addc_co_u32_e64 v18, s[2:3], 0, 0, vcc
	v_lshlrev_b64 v[17:18], 2, v[17:18]
	v_ashrrev_i32_e32 v1, 31, v0
	v_add_co_u32_e32 v19, vcc, s8, v17
	v_addc_co_u32_e32 v20, vcc, v9, v18, vcc
	v_add_co_u32_e32 v21, vcc, s10, v17
	v_addc_co_u32_e32 v22, vcc, v10, v18, vcc
	;; [unrolled: 2-line block ×8, first 2 shown]
	global_load_dword v19, v[19:20], off
	s_nop 0
	global_load_dword v20, v[21:22], off
	s_nop 0
	global_load_dword v21, v[23:24], off
	global_load_dword v22, v[25:26], off
                                        ; kill: killed $vgpr23 killed $vgpr24
                                        ; kill: killed $vgpr25 killed $vgpr26
	s_nop 0
	global_load_dword v23, v[27:28], off
	global_load_dword v24, v[29:30], off
	;; [unrolled: 1-line block ×4, first 2 shown]
	v_lshlrev_b64 v[17:18], 2, v[0:1]
	v_add_u32_e32 v0, s6, v0
	v_cmp_le_i32_e32 vcc, s24, v0
	v_add_co_u32_e64 v17, s[2:3], v7, v17
	v_addc_co_u32_e64 v18, s[2:3], v8, v18, s[2:3]
	s_or_b64 s[4:5], vcc, s[4:5]
	s_waitcnt vmcnt(7)
	v_add_f32_e32 v1, v3, v19
	s_waitcnt vmcnt(6)
	v_add_f32_e32 v1, v1, v20
	;; [unrolled: 2-line block ×8, first 2 shown]
	global_store_dword v[17:18], v1, off
	s_andn2_b64 exec, exec, s[4:5]
	s_cbranch_execz .LBB95_6
.LBB95_4:                               ; =>This Inner Loop Header: Depth=1
	s_and_b64 vcc, exec, s[0:1]
	v_mov_b32_e32 v3, 0
	s_cbranch_vccnz .LBB95_3
; %bb.5:                                ;   in Loop: Header=BB95_4 Depth=1
	v_ashrrev_i32_e32 v3, 31, v2
	v_lshlrev_b64 v[17:18], 1, v[2:3]
	v_add_co_u32_e32 v17, vcc, v5, v17
	v_addc_co_u32_e32 v18, vcc, v6, v18, vcc
	global_load_ushort v1, v[17:18], off
	s_waitcnt vmcnt(0)
	v_cvt_f32_f16_e32 v3, v1
	s_branch .LBB95_3
.LBB95_6:
	s_endpgm
	.section	.rodata,"a",@progbits
	.p2align	6, 0x0
	.amdhsa_kernel _ZL11k_bin_bcastIXadL_ZL6op_addffEE6__halfffJPKfS2_S2_S2_S2_S2_S2_S2_EEvPKT0_PKT1_PT2_iii15HIP_vector_typeIjLj3EESC_SC_SC_SC_iiiiiiiiiiiDpT3_
		.amdhsa_group_segment_fixed_size 0
		.amdhsa_private_segment_fixed_size 0
		.amdhsa_kernarg_size 464
		.amdhsa_user_sgpr_count 6
		.amdhsa_user_sgpr_private_segment_buffer 1
		.amdhsa_user_sgpr_dispatch_ptr 0
		.amdhsa_user_sgpr_queue_ptr 0
		.amdhsa_user_sgpr_kernarg_segment_ptr 1
		.amdhsa_user_sgpr_dispatch_id 0
		.amdhsa_user_sgpr_flat_scratch_init 0
		.amdhsa_user_sgpr_private_segment_size 0
		.amdhsa_uses_dynamic_stack 0
		.amdhsa_system_sgpr_private_segment_wavefront_offset 0
		.amdhsa_system_sgpr_workgroup_id_x 1
		.amdhsa_system_sgpr_workgroup_id_y 1
		.amdhsa_system_sgpr_workgroup_id_z 1
		.amdhsa_system_sgpr_workgroup_info 0
		.amdhsa_system_vgpr_workitem_id 2
		.amdhsa_next_free_vgpr 33
		.amdhsa_next_free_sgpr 44
		.amdhsa_reserve_vcc 1
		.amdhsa_reserve_flat_scratch 0
		.amdhsa_float_round_mode_32 0
		.amdhsa_float_round_mode_16_64 0
		.amdhsa_float_denorm_mode_32 3
		.amdhsa_float_denorm_mode_16_64 3
		.amdhsa_dx10_clamp 1
		.amdhsa_ieee_mode 1
		.amdhsa_fp16_overflow 0
		.amdhsa_exception_fp_ieee_invalid_op 0
		.amdhsa_exception_fp_denorm_src 0
		.amdhsa_exception_fp_ieee_div_zero 0
		.amdhsa_exception_fp_ieee_overflow 0
		.amdhsa_exception_fp_ieee_underflow 0
		.amdhsa_exception_fp_ieee_inexact 0
		.amdhsa_exception_int_div_zero 0
	.end_amdhsa_kernel
	.section	.text._ZL11k_bin_bcastIXadL_ZL6op_addffEE6__halfffJPKfS2_S2_S2_S2_S2_S2_S2_EEvPKT0_PKT1_PT2_iii15HIP_vector_typeIjLj3EESC_SC_SC_SC_iiiiiiiiiiiDpT3_,"axG",@progbits,_ZL11k_bin_bcastIXadL_ZL6op_addffEE6__halfffJPKfS2_S2_S2_S2_S2_S2_S2_EEvPKT0_PKT1_PT2_iii15HIP_vector_typeIjLj3EESC_SC_SC_SC_iiiiiiiiiiiDpT3_,comdat
.Lfunc_end95:
	.size	_ZL11k_bin_bcastIXadL_ZL6op_addffEE6__halfffJPKfS2_S2_S2_S2_S2_S2_S2_EEvPKT0_PKT1_PT2_iii15HIP_vector_typeIjLj3EESC_SC_SC_SC_iiiiiiiiiiiDpT3_, .Lfunc_end95-_ZL11k_bin_bcastIXadL_ZL6op_addffEE6__halfffJPKfS2_S2_S2_S2_S2_S2_S2_EEvPKT0_PKT1_PT2_iii15HIP_vector_typeIjLj3EESC_SC_SC_SC_iiiiiiiiiiiDpT3_
                                        ; -- End function
	.set _ZL11k_bin_bcastIXadL_ZL6op_addffEE6__halfffJPKfS2_S2_S2_S2_S2_S2_S2_EEvPKT0_PKT1_PT2_iii15HIP_vector_typeIjLj3EESC_SC_SC_SC_iiiiiiiiiiiDpT3_.num_vgpr, 33
	.set _ZL11k_bin_bcastIXadL_ZL6op_addffEE6__halfffJPKfS2_S2_S2_S2_S2_S2_S2_EEvPKT0_PKT1_PT2_iii15HIP_vector_typeIjLj3EESC_SC_SC_SC_iiiiiiiiiiiDpT3_.num_agpr, 0
	.set _ZL11k_bin_bcastIXadL_ZL6op_addffEE6__halfffJPKfS2_S2_S2_S2_S2_S2_S2_EEvPKT0_PKT1_PT2_iii15HIP_vector_typeIjLj3EESC_SC_SC_SC_iiiiiiiiiiiDpT3_.numbered_sgpr, 44
	.set _ZL11k_bin_bcastIXadL_ZL6op_addffEE6__halfffJPKfS2_S2_S2_S2_S2_S2_S2_EEvPKT0_PKT1_PT2_iii15HIP_vector_typeIjLj3EESC_SC_SC_SC_iiiiiiiiiiiDpT3_.num_named_barrier, 0
	.set _ZL11k_bin_bcastIXadL_ZL6op_addffEE6__halfffJPKfS2_S2_S2_S2_S2_S2_S2_EEvPKT0_PKT1_PT2_iii15HIP_vector_typeIjLj3EESC_SC_SC_SC_iiiiiiiiiiiDpT3_.private_seg_size, 0
	.set _ZL11k_bin_bcastIXadL_ZL6op_addffEE6__halfffJPKfS2_S2_S2_S2_S2_S2_S2_EEvPKT0_PKT1_PT2_iii15HIP_vector_typeIjLj3EESC_SC_SC_SC_iiiiiiiiiiiDpT3_.uses_vcc, 1
	.set _ZL11k_bin_bcastIXadL_ZL6op_addffEE6__halfffJPKfS2_S2_S2_S2_S2_S2_S2_EEvPKT0_PKT1_PT2_iii15HIP_vector_typeIjLj3EESC_SC_SC_SC_iiiiiiiiiiiDpT3_.uses_flat_scratch, 0
	.set _ZL11k_bin_bcastIXadL_ZL6op_addffEE6__halfffJPKfS2_S2_S2_S2_S2_S2_S2_EEvPKT0_PKT1_PT2_iii15HIP_vector_typeIjLj3EESC_SC_SC_SC_iiiiiiiiiiiDpT3_.has_dyn_sized_stack, 0
	.set _ZL11k_bin_bcastIXadL_ZL6op_addffEE6__halfffJPKfS2_S2_S2_S2_S2_S2_S2_EEvPKT0_PKT1_PT2_iii15HIP_vector_typeIjLj3EESC_SC_SC_SC_iiiiiiiiiiiDpT3_.has_recursion, 0
	.set _ZL11k_bin_bcastIXadL_ZL6op_addffEE6__halfffJPKfS2_S2_S2_S2_S2_S2_S2_EEvPKT0_PKT1_PT2_iii15HIP_vector_typeIjLj3EESC_SC_SC_SC_iiiiiiiiiiiDpT3_.has_indirect_call, 0
	.section	.AMDGPU.csdata,"",@progbits
; Kernel info:
; codeLenInByte = 924
; TotalNumSgprs: 48
; NumVgprs: 33
; ScratchSize: 0
; MemoryBound: 0
; FloatMode: 240
; IeeeMode: 1
; LDSByteSize: 0 bytes/workgroup (compile time only)
; SGPRBlocks: 5
; VGPRBlocks: 8
; NumSGPRsForWavesPerEU: 48
; NumVGPRsForWavesPerEU: 33
; Occupancy: 7
; WaveLimiterHint : 1
; COMPUTE_PGM_RSRC2:SCRATCH_EN: 0
; COMPUTE_PGM_RSRC2:USER_SGPR: 6
; COMPUTE_PGM_RSRC2:TRAP_HANDLER: 0
; COMPUTE_PGM_RSRC2:TGID_X_EN: 1
; COMPUTE_PGM_RSRC2:TGID_Y_EN: 1
; COMPUTE_PGM_RSRC2:TGID_Z_EN: 1
; COMPUTE_PGM_RSRC2:TIDIG_COMP_CNT: 2
	.section	.text._ZL19k_bin_bcast_unravelIXadL_ZL6op_mulffEEfffJPKfS1_EEvPKT0_PKT1_PT2_15HIP_vector_typeIjLj3EESB_SB_jSB_SB_SB_SB_SB_SB_iiiiiiiiiiiDpT3_,"axG",@progbits,_ZL19k_bin_bcast_unravelIXadL_ZL6op_mulffEEfffJPKfS1_EEvPKT0_PKT1_PT2_15HIP_vector_typeIjLj3EESB_SB_jSB_SB_SB_SB_SB_SB_iiiiiiiiiiiDpT3_,comdat
	.globl	_ZL19k_bin_bcast_unravelIXadL_ZL6op_mulffEEfffJPKfS1_EEvPKT0_PKT1_PT2_15HIP_vector_typeIjLj3EESB_SB_jSB_SB_SB_SB_SB_SB_iiiiiiiiiiiDpT3_ ; -- Begin function _ZL19k_bin_bcast_unravelIXadL_ZL6op_mulffEEfffJPKfS1_EEvPKT0_PKT1_PT2_15HIP_vector_typeIjLj3EESB_SB_jSB_SB_SB_SB_SB_SB_iiiiiiiiiiiDpT3_
	.p2align	8
	.type	_ZL19k_bin_bcast_unravelIXadL_ZL6op_mulffEEfffJPKfS1_EEvPKT0_PKT1_PT2_15HIP_vector_typeIjLj3EESB_SB_jSB_SB_SB_SB_SB_SB_iiiiiiiiiiiDpT3_,@function
_ZL19k_bin_bcast_unravelIXadL_ZL6op_mulffEEfffJPKfS1_EEvPKT0_PKT1_PT2_15HIP_vector_typeIjLj3EESB_SB_jSB_SB_SB_SB_SB_SB_iiiiiiiiiiiDpT3_: ; @_ZL19k_bin_bcast_unravelIXadL_ZL6op_mulffEEfffJPKfS1_EEvPKT0_PKT1_PT2_15HIP_vector_typeIjLj3EESB_SB_jSB_SB_SB_SB_SB_SB_iiiiiiiiiiiDpT3_
; %bb.0:
	s_load_dword s0, s[4:5], 0xd4
	s_load_dwordx8 s[8:15], s[4:5], 0x38
	s_waitcnt lgkmcnt(0)
	s_and_b32 s0, s0, 0xffff
	s_mul_i32 s6, s6, s0
	v_add_u32_e32 v0, s6, v0
	v_mul_hi_u32 v1, v0, s10
	s_load_dwordx4 s[0:3], s[4:5], 0x18
	s_waitcnt lgkmcnt(0)
	s_load_dword s3, s[4:5], 0x2c
	v_add_u32_e32 v1, v0, v1
	v_lshrrev_b32_e32 v1, s11, v1
	v_mul_lo_u32 v2, v1, s12
	v_sub_u32_e32 v0, v0, v2
	v_mul_hi_u32 v2, v0, s13
	v_add_u32_e32 v2, v0, v2
	v_lshrrev_b32_e32 v3, s14, v2
	v_mul_lo_u32 v2, v3, s15
	v_cmp_gt_u32_e32 vcc, s8, v3
	v_sub_u32_e32 v0, v0, v2
	v_mul_hi_u32 v2, v0, s0
	v_add_u32_e32 v2, v0, v2
	v_lshrrev_b32_e32 v4, s1, v2
	v_mul_lo_u32 v2, v4, s2
	s_waitcnt lgkmcnt(0)
	v_cmp_gt_u32_e64 s[0:1], s3, v4
	v_sub_u32_e32 v0, v0, v2
	v_cmp_gt_u32_e64 s[2:3], s2, v0
	s_and_b64 s[0:1], s[2:3], s[0:1]
	s_and_b64 s[0:1], s[0:1], vcc
	v_cmp_gt_u32_e32 vcc, s9, v1
	s_and_b64 s[0:1], vcc, s[0:1]
	s_and_saveexec_b64 s[2:3], s[0:1]
	s_cbranch_execz .LBB96_4
; %bb.1:
	s_load_dwordx2 s[6:7], s[4:5], 0x0
	s_load_dwordx4 s[0:3], s[4:5], 0xa8
	s_load_dwordx8 s[8:15], s[4:5], 0x88
	s_load_dwordx4 s[24:27], s[4:5], 0x78
	s_load_dwordx8 s[16:23], s[4:5], 0x58
	v_mov_b32_e32 v2, 0
	s_waitcnt lgkmcnt(0)
	s_cmp_eq_u64 s[6:7], 0
	v_mov_b32_e32 v5, 0
	s_cbranch_scc1 .LBB96_3
; %bb.2:
	v_mul_lo_u32 v5, v1, s14
	v_mul_lo_u32 v7, v3, s13
	;; [unrolled: 1-line block ×3, first 2 shown]
	v_mov_b32_e32 v6, 0
	v_mov_b32_e32 v9, s7
	v_add3_u32 v5, v7, v5, v8
	v_lshlrev_b64 v[7:8], 2, v[5:6]
	v_mul_lo_u32 v5, v0, s11
	v_add_co_u32_e32 v7, vcc, s6, v7
	v_addc_co_u32_e32 v8, vcc, v9, v8, vcc
	v_lshlrev_b64 v[5:6], 2, v[5:6]
	v_add_co_u32_e32 v5, vcc, v7, v5
	v_addc_co_u32_e32 v6, vcc, v8, v6, vcc
	global_load_dword v5, v[5:6], off
.LBB96_3:
	v_mul_hi_u32 v6, s19, v4
	v_mul_hi_u32 v7, s22, v3
	;; [unrolled: 1-line block ×4, first 2 shown]
	v_add_u32_e32 v6, v4, v6
	v_add_u32_e32 v7, v3, v7
	;; [unrolled: 1-line block ×3, first 2 shown]
	v_lshrrev_b32_e32 v6, s20, v6
	v_lshrrev_b32_e32 v7, s23, v7
	;; [unrolled: 1-line block ×3, first 2 shown]
	v_add_u32_e32 v9, v0, v9
	v_mul_lo_u32 v6, v6, s21
	v_mul_lo_u32 v7, v7, s24
	;; [unrolled: 1-line block ×3, first 2 shown]
	v_lshrrev_b32_e32 v9, s17, v9
	v_mul_lo_u32 v9, v9, s18
	v_sub_u32_e32 v6, v4, v6
	v_sub_u32_e32 v7, v3, v7
	;; [unrolled: 1-line block ×3, first 2 shown]
	v_mul_lo_u32 v8, v8, s2
	v_mul_lo_u32 v7, v7, s1
	;; [unrolled: 1-line block ×3, first 2 shown]
	v_sub_u32_e32 v9, v0, v9
	v_mul_lo_u32 v9, v9, s15
	s_load_dwordx4 s[0:3], s[4:5], 0xb8
	v_add3_u32 v6, v7, v8, v6
	v_ashrrev_i32_e32 v7, 31, v6
	v_ashrrev_i32_e32 v8, 31, v9
	v_add_co_u32_e32 v6, vcc, v9, v6
	v_addc_co_u32_e32 v7, vcc, v8, v7, vcc
	v_lshlrev_b64 v[6:7], 2, v[6:7]
	s_waitcnt lgkmcnt(0)
	v_mov_b32_e32 v9, s1
	v_add_co_u32_e32 v8, vcc, s0, v6
	v_addc_co_u32_e32 v9, vcc, v9, v7, vcc
	global_load_dword v8, v[8:9], off
	v_mov_b32_e32 v9, s3
	v_add_co_u32_e32 v6, vcc, s2, v6
	v_addc_co_u32_e32 v7, vcc, v9, v7, vcc
	global_load_dword v6, v[6:7], off
	v_mul_lo_u32 v7, v1, s10
	v_mul_lo_u32 v9, v3, s9
	;; [unrolled: 1-line block ×3, first 2 shown]
	s_load_dwordx2 s[0:1], s[4:5], 0x10
	v_mov_b32_e32 v1, v2
	v_lshlrev_b64 v[3:4], 2, v[0:1]
	v_add3_u32 v1, v9, v7, v10
	v_lshlrev_b64 v[0:1], 2, v[1:2]
	s_waitcnt lgkmcnt(0)
	v_mov_b32_e32 v2, s1
	v_add_co_u32_e32 v0, vcc, s0, v0
	v_addc_co_u32_e32 v1, vcc, v2, v1, vcc
	v_add_co_u32_e32 v0, vcc, v0, v3
	v_addc_co_u32_e32 v1, vcc, v1, v4, vcc
	s_waitcnt vmcnt(1)
	v_mul_f32_e32 v2, v5, v8
	s_waitcnt vmcnt(0)
	v_mul_f32_e32 v2, v2, v6
	global_store_dword v[0:1], v2, off
.LBB96_4:
	s_endpgm
	.section	.rodata,"a",@progbits
	.p2align	6, 0x0
	.amdhsa_kernel _ZL19k_bin_bcast_unravelIXadL_ZL6op_mulffEEfffJPKfS1_EEvPKT0_PKT1_PT2_15HIP_vector_typeIjLj3EESB_SB_jSB_SB_SB_SB_SB_SB_iiiiiiiiiiiDpT3_
		.amdhsa_group_segment_fixed_size 0
		.amdhsa_private_segment_fixed_size 0
		.amdhsa_kernarg_size 456
		.amdhsa_user_sgpr_count 6
		.amdhsa_user_sgpr_private_segment_buffer 1
		.amdhsa_user_sgpr_dispatch_ptr 0
		.amdhsa_user_sgpr_queue_ptr 0
		.amdhsa_user_sgpr_kernarg_segment_ptr 1
		.amdhsa_user_sgpr_dispatch_id 0
		.amdhsa_user_sgpr_flat_scratch_init 0
		.amdhsa_user_sgpr_private_segment_size 0
		.amdhsa_uses_dynamic_stack 0
		.amdhsa_system_sgpr_private_segment_wavefront_offset 0
		.amdhsa_system_sgpr_workgroup_id_x 1
		.amdhsa_system_sgpr_workgroup_id_y 0
		.amdhsa_system_sgpr_workgroup_id_z 0
		.amdhsa_system_sgpr_workgroup_info 0
		.amdhsa_system_vgpr_workitem_id 0
		.amdhsa_next_free_vgpr 11
		.amdhsa_next_free_sgpr 28
		.amdhsa_reserve_vcc 1
		.amdhsa_reserve_flat_scratch 0
		.amdhsa_float_round_mode_32 0
		.amdhsa_float_round_mode_16_64 0
		.amdhsa_float_denorm_mode_32 3
		.amdhsa_float_denorm_mode_16_64 3
		.amdhsa_dx10_clamp 1
		.amdhsa_ieee_mode 1
		.amdhsa_fp16_overflow 0
		.amdhsa_exception_fp_ieee_invalid_op 0
		.amdhsa_exception_fp_denorm_src 0
		.amdhsa_exception_fp_ieee_div_zero 0
		.amdhsa_exception_fp_ieee_overflow 0
		.amdhsa_exception_fp_ieee_underflow 0
		.amdhsa_exception_fp_ieee_inexact 0
		.amdhsa_exception_int_div_zero 0
	.end_amdhsa_kernel
	.section	.text._ZL19k_bin_bcast_unravelIXadL_ZL6op_mulffEEfffJPKfS1_EEvPKT0_PKT1_PT2_15HIP_vector_typeIjLj3EESB_SB_jSB_SB_SB_SB_SB_SB_iiiiiiiiiiiDpT3_,"axG",@progbits,_ZL19k_bin_bcast_unravelIXadL_ZL6op_mulffEEfffJPKfS1_EEvPKT0_PKT1_PT2_15HIP_vector_typeIjLj3EESB_SB_jSB_SB_SB_SB_SB_SB_iiiiiiiiiiiDpT3_,comdat
.Lfunc_end96:
	.size	_ZL19k_bin_bcast_unravelIXadL_ZL6op_mulffEEfffJPKfS1_EEvPKT0_PKT1_PT2_15HIP_vector_typeIjLj3EESB_SB_jSB_SB_SB_SB_SB_SB_iiiiiiiiiiiDpT3_, .Lfunc_end96-_ZL19k_bin_bcast_unravelIXadL_ZL6op_mulffEEfffJPKfS1_EEvPKT0_PKT1_PT2_15HIP_vector_typeIjLj3EESB_SB_jSB_SB_SB_SB_SB_SB_iiiiiiiiiiiDpT3_
                                        ; -- End function
	.set _ZL19k_bin_bcast_unravelIXadL_ZL6op_mulffEEfffJPKfS1_EEvPKT0_PKT1_PT2_15HIP_vector_typeIjLj3EESB_SB_jSB_SB_SB_SB_SB_SB_iiiiiiiiiiiDpT3_.num_vgpr, 11
	.set _ZL19k_bin_bcast_unravelIXadL_ZL6op_mulffEEfffJPKfS1_EEvPKT0_PKT1_PT2_15HIP_vector_typeIjLj3EESB_SB_jSB_SB_SB_SB_SB_SB_iiiiiiiiiiiDpT3_.num_agpr, 0
	.set _ZL19k_bin_bcast_unravelIXadL_ZL6op_mulffEEfffJPKfS1_EEvPKT0_PKT1_PT2_15HIP_vector_typeIjLj3EESB_SB_jSB_SB_SB_SB_SB_SB_iiiiiiiiiiiDpT3_.numbered_sgpr, 28
	.set _ZL19k_bin_bcast_unravelIXadL_ZL6op_mulffEEfffJPKfS1_EEvPKT0_PKT1_PT2_15HIP_vector_typeIjLj3EESB_SB_jSB_SB_SB_SB_SB_SB_iiiiiiiiiiiDpT3_.num_named_barrier, 0
	.set _ZL19k_bin_bcast_unravelIXadL_ZL6op_mulffEEfffJPKfS1_EEvPKT0_PKT1_PT2_15HIP_vector_typeIjLj3EESB_SB_jSB_SB_SB_SB_SB_SB_iiiiiiiiiiiDpT3_.private_seg_size, 0
	.set _ZL19k_bin_bcast_unravelIXadL_ZL6op_mulffEEfffJPKfS1_EEvPKT0_PKT1_PT2_15HIP_vector_typeIjLj3EESB_SB_jSB_SB_SB_SB_SB_SB_iiiiiiiiiiiDpT3_.uses_vcc, 1
	.set _ZL19k_bin_bcast_unravelIXadL_ZL6op_mulffEEfffJPKfS1_EEvPKT0_PKT1_PT2_15HIP_vector_typeIjLj3EESB_SB_jSB_SB_SB_SB_SB_SB_iiiiiiiiiiiDpT3_.uses_flat_scratch, 0
	.set _ZL19k_bin_bcast_unravelIXadL_ZL6op_mulffEEfffJPKfS1_EEvPKT0_PKT1_PT2_15HIP_vector_typeIjLj3EESB_SB_jSB_SB_SB_SB_SB_SB_iiiiiiiiiiiDpT3_.has_dyn_sized_stack, 0
	.set _ZL19k_bin_bcast_unravelIXadL_ZL6op_mulffEEfffJPKfS1_EEvPKT0_PKT1_PT2_15HIP_vector_typeIjLj3EESB_SB_jSB_SB_SB_SB_SB_SB_iiiiiiiiiiiDpT3_.has_recursion, 0
	.set _ZL19k_bin_bcast_unravelIXadL_ZL6op_mulffEEfffJPKfS1_EEvPKT0_PKT1_PT2_15HIP_vector_typeIjLj3EESB_SB_jSB_SB_SB_SB_SB_SB_iiiiiiiiiiiDpT3_.has_indirect_call, 0
	.section	.AMDGPU.csdata,"",@progbits
; Kernel info:
; codeLenInByte = 676
; TotalNumSgprs: 32
; NumVgprs: 11
; ScratchSize: 0
; MemoryBound: 0
; FloatMode: 240
; IeeeMode: 1
; LDSByteSize: 0 bytes/workgroup (compile time only)
; SGPRBlocks: 3
; VGPRBlocks: 2
; NumSGPRsForWavesPerEU: 32
; NumVGPRsForWavesPerEU: 11
; Occupancy: 10
; WaveLimiterHint : 1
; COMPUTE_PGM_RSRC2:SCRATCH_EN: 0
; COMPUTE_PGM_RSRC2:USER_SGPR: 6
; COMPUTE_PGM_RSRC2:TRAP_HANDLER: 0
; COMPUTE_PGM_RSRC2:TGID_X_EN: 1
; COMPUTE_PGM_RSRC2:TGID_Y_EN: 0
; COMPUTE_PGM_RSRC2:TGID_Z_EN: 0
; COMPUTE_PGM_RSRC2:TIDIG_COMP_CNT: 0
	.section	.text._ZL11k_bin_bcastIXadL_ZL6op_mulffEEfffJPKfS1_EEvPKT0_PKT1_PT2_iii15HIP_vector_typeIjLj3EESB_SB_SB_SB_iiiiiiiiiiiDpT3_,"axG",@progbits,_ZL11k_bin_bcastIXadL_ZL6op_mulffEEfffJPKfS1_EEvPKT0_PKT1_PT2_iii15HIP_vector_typeIjLj3EESB_SB_SB_SB_iiiiiiiiiiiDpT3_,comdat
	.globl	_ZL11k_bin_bcastIXadL_ZL6op_mulffEEfffJPKfS1_EEvPKT0_PKT1_PT2_iii15HIP_vector_typeIjLj3EESB_SB_SB_SB_iiiiiiiiiiiDpT3_ ; -- Begin function _ZL11k_bin_bcastIXadL_ZL6op_mulffEEfffJPKfS1_EEvPKT0_PKT1_PT2_iii15HIP_vector_typeIjLj3EESB_SB_SB_SB_iiiiiiiiiiiDpT3_
	.p2align	8
	.type	_ZL11k_bin_bcastIXadL_ZL6op_mulffEEfffJPKfS1_EEvPKT0_PKT1_PT2_iii15HIP_vector_typeIjLj3EESB_SB_SB_SB_iiiiiiiiiiiDpT3_,@function
_ZL11k_bin_bcastIXadL_ZL6op_mulffEEfffJPKfS1_EEvPKT0_PKT1_PT2_iii15HIP_vector_typeIjLj3EESB_SB_SB_SB_iiiiiiiiiiiDpT3_: ; @_ZL11k_bin_bcastIXadL_ZL6op_mulffEEfffJPKfS1_EEvPKT0_PKT1_PT2_iii15HIP_vector_typeIjLj3EESB_SB_SB_SB_iiiiiiiiiiiDpT3_
; %bb.0:
	s_load_dwordx2 s[0:1], s[4:5], 0xac
	s_load_dwordx8 s[12:19], s[4:5], 0x18
	s_add_u32 s2, s4, 0xa0
	s_addc_u32 s3, s5, 0
	s_waitcnt lgkmcnt(0)
	s_and_b32 s1, s1, 0xffff
	s_mul_i32 s8, s8, s1
	v_add_u32_e32 v3, s8, v2
	v_mul_hi_u32 v2, v3, s15
	s_lshr_b32 s1, s0, 16
	s_and_b32 s8, s0, 0xffff
	s_mul_i32 s6, s6, s8
	v_add_u32_e32 v2, v3, v2
	v_lshrrev_b32_e32 v2, s16, v2
	v_mul_lo_u32 v4, v2, s17
	s_mul_i32 s7, s7, s1
	v_add_u32_e32 v0, s6, v0
	v_add_u32_e32 v1, s7, v1
	v_cmp_gt_u32_e32 vcc, s12, v0
	v_cmp_gt_u32_e64 s[0:1], s13, v1
	v_sub_u32_e32 v3, v3, v4
	s_and_b64 s[0:1], vcc, s[0:1]
	v_cmp_gt_u32_e32 vcc, s14, v2
	s_and_b64 s[0:1], s[0:1], vcc
	v_cmp_gt_u32_e32 vcc, s17, v3
	s_and_b64 s[0:1], s[0:1], vcc
	s_and_saveexec_b64 s[6:7], s[0:1]
	s_cbranch_execz .LBB97_6
; %bb.1:
	v_cmp_gt_i32_e32 vcc, s12, v0
	s_and_b64 exec, exec, vcc
	s_cbranch_execz .LBB97_6
; %bb.2:
	s_load_dwordx8 s[44:51], s[4:5], 0x3c
	s_load_dwordx8 s[20:27], s[4:5], 0x60
	;; [unrolled: 1-line block ×3, first 2 shown]
	s_load_dword s6, s[2:3], 0x0
	s_load_dword s0, s[4:5], 0x5c
	s_waitcnt lgkmcnt(0)
	v_mul_hi_u32 v4, s44, v1
	v_mul_hi_u32 v5, s47, v2
	;; [unrolled: 1-line block ×3, first 2 shown]
	v_mul_lo_u32 v7, v3, s26
	v_add_u32_e32 v4, v1, v4
	v_add_u32_e32 v5, v2, v5
	;; [unrolled: 1-line block ×3, first 2 shown]
	v_lshrrev_b32_e32 v4, s45, v4
	v_lshrrev_b32_e32 v5, s48, v5
	;; [unrolled: 1-line block ×3, first 2 shown]
	v_mul_lo_u32 v4, v4, s46
	v_mul_lo_u32 v5, v5, s49
	v_mul_lo_u32 v6, v6, s0
	v_mul_lo_u32 v8, v2, s25
	v_mul_lo_u32 v9, v1, s24
	v_sub_u32_e32 v4, v1, v4
	v_sub_u32_e32 v5, v2, v5
	;; [unrolled: 1-line block ×3, first 2 shown]
	s_load_dword s9, s[4:5], 0x38
	s_load_dwordx2 s[0:1], s[4:5], 0x0
	s_load_dwordx2 s[2:3], s[4:5], 0x10
	v_mul_lo_u32 v6, v6, s38
	v_mul_lo_u32 v5, v5, s37
	;; [unrolled: 1-line block ×6, first 2 shown]
	v_add3_u32 v1, v8, v9, v7
	v_mov_b32_e32 v2, 0
	v_mov_b32_e32 v8, v2
	v_lshlrev_b64 v[1:2], 2, v[1:2]
	v_add3_u32 v4, v5, v6, v4
	v_add3_u32 v7, v10, v11, v3
	s_waitcnt lgkmcnt(0)
	v_mov_b32_e32 v3, s1
	v_add_co_u32_e32 v5, vcc, s0, v1
	v_addc_co_u32_e32 v6, vcc, v3, v2, vcc
	v_lshlrev_b64 v[1:2], 2, v[7:8]
	v_mov_b32_e32 v3, s3
	v_add_co_u32_e32 v7, vcc, s2, v1
	v_addc_co_u32_e32 v8, vcc, v3, v2, vcc
	s_cmp_lg_u64 s[0:1], 0
	v_mul_lo_u32 v2, s23, v0
	s_cselect_b64 s[0:1], -1, 0
	s_mul_i32 s6, s6, s8
	v_cndmask_b32_e64 v1, 0, 1, s[0:1]
	s_mov_b64 s[4:5], 0
	s_mul_i32 s7, s6, s23
	s_sub_i32 s8, 0, s9
	v_cmp_ne_u32_e64 s[0:1], 1, v1
	v_mov_b32_e32 v9, s41
	v_mov_b32_e32 v10, s43
	s_branch .LBB97_4
.LBB97_3:                               ;   in Loop: Header=BB97_4 Depth=1
	v_mul_hi_u32 v1, s18, v0
	v_add_u32_e32 v2, s7, v2
	v_add_u32_e32 v1, v0, v1
	v_lshrrev_b32_e32 v1, s19, v1
	v_mad_u64_u32 v[11:12], s[2:3], s8, v1, v[0:1]
	v_mul_lo_u32 v1, v11, s27
	v_add_co_u32_e32 v11, vcc, v1, v4
	v_addc_co_u32_e64 v12, s[2:3], 0, 0, vcc
	v_lshlrev_b64 v[11:12], 2, v[11:12]
	v_ashrrev_i32_e32 v1, 31, v0
	v_add_co_u32_e32 v13, vcc, s40, v11
	v_addc_co_u32_e32 v14, vcc, v9, v12, vcc
	v_add_co_u32_e32 v11, vcc, s42, v11
	global_load_dword v13, v[13:14], off
	v_addc_co_u32_e32 v12, vcc, v10, v12, vcc
	global_load_dword v14, v[11:12], off
	v_lshlrev_b64 v[11:12], 2, v[0:1]
	v_add_u32_e32 v0, s6, v0
	v_cmp_le_i32_e32 vcc, s12, v0
	v_add_co_u32_e64 v11, s[2:3], v7, v11
	v_addc_co_u32_e64 v12, s[2:3], v8, v12, s[2:3]
	s_or_b64 s[4:5], vcc, s[4:5]
	s_waitcnt vmcnt(1)
	v_mul_f32_e32 v1, v3, v13
	s_waitcnt vmcnt(0)
	v_mul_f32_e32 v1, v1, v14
	global_store_dword v[11:12], v1, off
	s_andn2_b64 exec, exec, s[4:5]
	s_cbranch_execz .LBB97_6
.LBB97_4:                               ; =>This Inner Loop Header: Depth=1
	s_and_b64 vcc, exec, s[0:1]
	v_mov_b32_e32 v3, 0
	s_cbranch_vccnz .LBB97_3
; %bb.5:                                ;   in Loop: Header=BB97_4 Depth=1
	v_ashrrev_i32_e32 v3, 31, v2
	v_lshlrev_b64 v[11:12], 2, v[2:3]
	v_add_co_u32_e32 v11, vcc, v5, v11
	v_addc_co_u32_e32 v12, vcc, v6, v12, vcc
	global_load_dword v3, v[11:12], off
	s_branch .LBB97_3
.LBB97_6:
	s_endpgm
	.section	.rodata,"a",@progbits
	.p2align	6, 0x0
	.amdhsa_kernel _ZL11k_bin_bcastIXadL_ZL6op_mulffEEfffJPKfS1_EEvPKT0_PKT1_PT2_iii15HIP_vector_typeIjLj3EESB_SB_SB_SB_iiiiiiiiiiiDpT3_
		.amdhsa_group_segment_fixed_size 0
		.amdhsa_private_segment_fixed_size 0
		.amdhsa_kernarg_size 416
		.amdhsa_user_sgpr_count 6
		.amdhsa_user_sgpr_private_segment_buffer 1
		.amdhsa_user_sgpr_dispatch_ptr 0
		.amdhsa_user_sgpr_queue_ptr 0
		.amdhsa_user_sgpr_kernarg_segment_ptr 1
		.amdhsa_user_sgpr_dispatch_id 0
		.amdhsa_user_sgpr_flat_scratch_init 0
		.amdhsa_user_sgpr_private_segment_size 0
		.amdhsa_uses_dynamic_stack 0
		.amdhsa_system_sgpr_private_segment_wavefront_offset 0
		.amdhsa_system_sgpr_workgroup_id_x 1
		.amdhsa_system_sgpr_workgroup_id_y 1
		.amdhsa_system_sgpr_workgroup_id_z 1
		.amdhsa_system_sgpr_workgroup_info 0
		.amdhsa_system_vgpr_workitem_id 2
		.amdhsa_next_free_vgpr 15
		.amdhsa_next_free_sgpr 52
		.amdhsa_reserve_vcc 1
		.amdhsa_reserve_flat_scratch 0
		.amdhsa_float_round_mode_32 0
		.amdhsa_float_round_mode_16_64 0
		.amdhsa_float_denorm_mode_32 3
		.amdhsa_float_denorm_mode_16_64 3
		.amdhsa_dx10_clamp 1
		.amdhsa_ieee_mode 1
		.amdhsa_fp16_overflow 0
		.amdhsa_exception_fp_ieee_invalid_op 0
		.amdhsa_exception_fp_denorm_src 0
		.amdhsa_exception_fp_ieee_div_zero 0
		.amdhsa_exception_fp_ieee_overflow 0
		.amdhsa_exception_fp_ieee_underflow 0
		.amdhsa_exception_fp_ieee_inexact 0
		.amdhsa_exception_int_div_zero 0
	.end_amdhsa_kernel
	.section	.text._ZL11k_bin_bcastIXadL_ZL6op_mulffEEfffJPKfS1_EEvPKT0_PKT1_PT2_iii15HIP_vector_typeIjLj3EESB_SB_SB_SB_iiiiiiiiiiiDpT3_,"axG",@progbits,_ZL11k_bin_bcastIXadL_ZL6op_mulffEEfffJPKfS1_EEvPKT0_PKT1_PT2_iii15HIP_vector_typeIjLj3EESB_SB_SB_SB_iiiiiiiiiiiDpT3_,comdat
.Lfunc_end97:
	.size	_ZL11k_bin_bcastIXadL_ZL6op_mulffEEfffJPKfS1_EEvPKT0_PKT1_PT2_iii15HIP_vector_typeIjLj3EESB_SB_SB_SB_iiiiiiiiiiiDpT3_, .Lfunc_end97-_ZL11k_bin_bcastIXadL_ZL6op_mulffEEfffJPKfS1_EEvPKT0_PKT1_PT2_iii15HIP_vector_typeIjLj3EESB_SB_SB_SB_iiiiiiiiiiiDpT3_
                                        ; -- End function
	.set _ZL11k_bin_bcastIXadL_ZL6op_mulffEEfffJPKfS1_EEvPKT0_PKT1_PT2_iii15HIP_vector_typeIjLj3EESB_SB_SB_SB_iiiiiiiiiiiDpT3_.num_vgpr, 15
	.set _ZL11k_bin_bcastIXadL_ZL6op_mulffEEfffJPKfS1_EEvPKT0_PKT1_PT2_iii15HIP_vector_typeIjLj3EESB_SB_SB_SB_iiiiiiiiiiiDpT3_.num_agpr, 0
	.set _ZL11k_bin_bcastIXadL_ZL6op_mulffEEfffJPKfS1_EEvPKT0_PKT1_PT2_iii15HIP_vector_typeIjLj3EESB_SB_SB_SB_iiiiiiiiiiiDpT3_.numbered_sgpr, 52
	.set _ZL11k_bin_bcastIXadL_ZL6op_mulffEEfffJPKfS1_EEvPKT0_PKT1_PT2_iii15HIP_vector_typeIjLj3EESB_SB_SB_SB_iiiiiiiiiiiDpT3_.num_named_barrier, 0
	.set _ZL11k_bin_bcastIXadL_ZL6op_mulffEEfffJPKfS1_EEvPKT0_PKT1_PT2_iii15HIP_vector_typeIjLj3EESB_SB_SB_SB_iiiiiiiiiiiDpT3_.private_seg_size, 0
	.set _ZL11k_bin_bcastIXadL_ZL6op_mulffEEfffJPKfS1_EEvPKT0_PKT1_PT2_iii15HIP_vector_typeIjLj3EESB_SB_SB_SB_iiiiiiiiiiiDpT3_.uses_vcc, 1
	.set _ZL11k_bin_bcastIXadL_ZL6op_mulffEEfffJPKfS1_EEvPKT0_PKT1_PT2_iii15HIP_vector_typeIjLj3EESB_SB_SB_SB_iiiiiiiiiiiDpT3_.uses_flat_scratch, 0
	.set _ZL11k_bin_bcastIXadL_ZL6op_mulffEEfffJPKfS1_EEvPKT0_PKT1_PT2_iii15HIP_vector_typeIjLj3EESB_SB_SB_SB_iiiiiiiiiiiDpT3_.has_dyn_sized_stack, 0
	.set _ZL11k_bin_bcastIXadL_ZL6op_mulffEEfffJPKfS1_EEvPKT0_PKT1_PT2_iii15HIP_vector_typeIjLj3EESB_SB_SB_SB_iiiiiiiiiiiDpT3_.has_recursion, 0
	.set _ZL11k_bin_bcastIXadL_ZL6op_mulffEEfffJPKfS1_EEvPKT0_PKT1_PT2_iii15HIP_vector_typeIjLj3EESB_SB_SB_SB_iiiiiiiiiiiDpT3_.has_indirect_call, 0
	.section	.AMDGPU.csdata,"",@progbits
; Kernel info:
; codeLenInByte = 724
; TotalNumSgprs: 56
; NumVgprs: 15
; ScratchSize: 0
; MemoryBound: 0
; FloatMode: 240
; IeeeMode: 1
; LDSByteSize: 0 bytes/workgroup (compile time only)
; SGPRBlocks: 6
; VGPRBlocks: 3
; NumSGPRsForWavesPerEU: 56
; NumVGPRsForWavesPerEU: 15
; Occupancy: 10
; WaveLimiterHint : 1
; COMPUTE_PGM_RSRC2:SCRATCH_EN: 0
; COMPUTE_PGM_RSRC2:USER_SGPR: 6
; COMPUTE_PGM_RSRC2:TRAP_HANDLER: 0
; COMPUTE_PGM_RSRC2:TGID_X_EN: 1
; COMPUTE_PGM_RSRC2:TGID_Y_EN: 1
; COMPUTE_PGM_RSRC2:TGID_Z_EN: 1
; COMPUTE_PGM_RSRC2:TIDIG_COMP_CNT: 2
	.section	.text._ZL19k_bin_bcast_unravelIXadL_ZL6op_mulffEE6__halfS0_S0_JPKS0_S2_EEvPKT0_PKT1_PT2_15HIP_vector_typeIjLj3EESC_SC_jSC_SC_SC_SC_SC_SC_iiiiiiiiiiiDpT3_,"axG",@progbits,_ZL19k_bin_bcast_unravelIXadL_ZL6op_mulffEE6__halfS0_S0_JPKS0_S2_EEvPKT0_PKT1_PT2_15HIP_vector_typeIjLj3EESC_SC_jSC_SC_SC_SC_SC_SC_iiiiiiiiiiiDpT3_,comdat
	.globl	_ZL19k_bin_bcast_unravelIXadL_ZL6op_mulffEE6__halfS0_S0_JPKS0_S2_EEvPKT0_PKT1_PT2_15HIP_vector_typeIjLj3EESC_SC_jSC_SC_SC_SC_SC_SC_iiiiiiiiiiiDpT3_ ; -- Begin function _ZL19k_bin_bcast_unravelIXadL_ZL6op_mulffEE6__halfS0_S0_JPKS0_S2_EEvPKT0_PKT1_PT2_15HIP_vector_typeIjLj3EESC_SC_jSC_SC_SC_SC_SC_SC_iiiiiiiiiiiDpT3_
	.p2align	8
	.type	_ZL19k_bin_bcast_unravelIXadL_ZL6op_mulffEE6__halfS0_S0_JPKS0_S2_EEvPKT0_PKT1_PT2_15HIP_vector_typeIjLj3EESC_SC_jSC_SC_SC_SC_SC_SC_iiiiiiiiiiiDpT3_,@function
_ZL19k_bin_bcast_unravelIXadL_ZL6op_mulffEE6__halfS0_S0_JPKS0_S2_EEvPKT0_PKT1_PT2_15HIP_vector_typeIjLj3EESC_SC_jSC_SC_SC_SC_SC_SC_iiiiiiiiiiiDpT3_: ; @_ZL19k_bin_bcast_unravelIXadL_ZL6op_mulffEE6__halfS0_S0_JPKS0_S2_EEvPKT0_PKT1_PT2_15HIP_vector_typeIjLj3EESC_SC_jSC_SC_SC_SC_SC_SC_iiiiiiiiiiiDpT3_
; %bb.0:
	s_load_dword s0, s[4:5], 0xd4
	s_load_dwordx8 s[8:15], s[4:5], 0x38
	s_waitcnt lgkmcnt(0)
	s_and_b32 s0, s0, 0xffff
	s_mul_i32 s6, s6, s0
	v_add_u32_e32 v0, s6, v0
	v_mul_hi_u32 v1, v0, s10
	s_load_dwordx4 s[0:3], s[4:5], 0x18
	s_waitcnt lgkmcnt(0)
	s_load_dword s3, s[4:5], 0x2c
	v_add_u32_e32 v1, v0, v1
	v_lshrrev_b32_e32 v1, s11, v1
	v_mul_lo_u32 v2, v1, s12
	v_sub_u32_e32 v0, v0, v2
	v_mul_hi_u32 v2, v0, s13
	v_add_u32_e32 v2, v0, v2
	v_lshrrev_b32_e32 v3, s14, v2
	v_mul_lo_u32 v2, v3, s15
	v_cmp_gt_u32_e32 vcc, s8, v3
	v_sub_u32_e32 v0, v0, v2
	v_mul_hi_u32 v2, v0, s0
	v_add_u32_e32 v2, v0, v2
	v_lshrrev_b32_e32 v4, s1, v2
	v_mul_lo_u32 v2, v4, s2
	s_waitcnt lgkmcnt(0)
	v_cmp_gt_u32_e64 s[0:1], s3, v4
	v_sub_u32_e32 v0, v0, v2
	v_cmp_gt_u32_e64 s[2:3], s2, v0
	s_and_b64 s[0:1], s[2:3], s[0:1]
	s_and_b64 s[0:1], s[0:1], vcc
	v_cmp_gt_u32_e32 vcc, s9, v1
	s_and_b64 s[0:1], vcc, s[0:1]
	s_and_saveexec_b64 s[2:3], s[0:1]
	s_cbranch_execz .LBB98_4
; %bb.1:
	s_load_dwordx2 s[6:7], s[4:5], 0x0
	s_load_dwordx4 s[0:3], s[4:5], 0xa8
	s_load_dwordx8 s[8:15], s[4:5], 0x88
	s_load_dwordx4 s[24:27], s[4:5], 0x78
	s_load_dwordx8 s[16:23], s[4:5], 0x58
	v_mov_b32_e32 v2, 0
	s_waitcnt lgkmcnt(0)
	s_cmp_eq_u64 s[6:7], 0
	v_mov_b32_e32 v5, 0
	s_cbranch_scc1 .LBB98_3
; %bb.2:
	v_mul_lo_u32 v5, v1, s14
	v_mul_lo_u32 v7, v3, s13
	;; [unrolled: 1-line block ×3, first 2 shown]
	v_mov_b32_e32 v6, 0
	v_mov_b32_e32 v9, s7
	v_add3_u32 v5, v7, v5, v8
	v_lshlrev_b64 v[7:8], 1, v[5:6]
	v_mul_lo_u32 v5, v0, s11
	v_add_co_u32_e32 v7, vcc, s6, v7
	v_addc_co_u32_e32 v8, vcc, v9, v8, vcc
	v_lshlrev_b64 v[5:6], 1, v[5:6]
	v_add_co_u32_e32 v5, vcc, v7, v5
	v_addc_co_u32_e32 v6, vcc, v8, v6, vcc
	global_load_ushort v5, v[5:6], off
	s_waitcnt vmcnt(0)
	v_cvt_f32_f16_e32 v5, v5
.LBB98_3:
	v_mul_hi_u32 v6, s19, v4
	v_mul_hi_u32 v7, s22, v3
	;; [unrolled: 1-line block ×4, first 2 shown]
	v_add_u32_e32 v6, v4, v6
	v_add_u32_e32 v7, v3, v7
	;; [unrolled: 1-line block ×3, first 2 shown]
	v_lshrrev_b32_e32 v6, s20, v6
	v_lshrrev_b32_e32 v7, s23, v7
	;; [unrolled: 1-line block ×3, first 2 shown]
	v_add_u32_e32 v9, v0, v9
	v_mul_lo_u32 v6, v6, s21
	v_mul_lo_u32 v7, v7, s24
	;; [unrolled: 1-line block ×3, first 2 shown]
	v_lshrrev_b32_e32 v9, s17, v9
	v_mul_lo_u32 v9, v9, s18
	v_sub_u32_e32 v6, v4, v6
	v_sub_u32_e32 v7, v3, v7
	;; [unrolled: 1-line block ×3, first 2 shown]
	v_mul_lo_u32 v8, v8, s2
	v_mul_lo_u32 v7, v7, s1
	;; [unrolled: 1-line block ×3, first 2 shown]
	v_sub_u32_e32 v9, v0, v9
	v_mul_lo_u32 v9, v9, s15
	s_load_dwordx4 s[0:3], s[4:5], 0xb8
	v_add3_u32 v6, v7, v8, v6
	v_ashrrev_i32_e32 v7, 31, v6
	v_ashrrev_i32_e32 v8, 31, v9
	v_add_co_u32_e32 v6, vcc, v9, v6
	v_addc_co_u32_e32 v7, vcc, v8, v7, vcc
	v_lshlrev_b64 v[6:7], 1, v[6:7]
	s_waitcnt lgkmcnt(0)
	v_mov_b32_e32 v9, s1
	v_add_co_u32_e32 v8, vcc, s0, v6
	v_addc_co_u32_e32 v9, vcc, v9, v7, vcc
	global_load_ushort v8, v[8:9], off
	v_mov_b32_e32 v9, s3
	v_add_co_u32_e32 v6, vcc, s2, v6
	v_addc_co_u32_e32 v7, vcc, v9, v7, vcc
	global_load_ushort v6, v[6:7], off
	v_mul_lo_u32 v7, v1, s10
	v_mul_lo_u32 v9, v3, s9
	;; [unrolled: 1-line block ×3, first 2 shown]
	s_load_dwordx2 s[0:1], s[4:5], 0x10
	v_mov_b32_e32 v1, v2
	v_lshlrev_b64 v[3:4], 1, v[0:1]
	v_add3_u32 v1, v9, v7, v10
	v_lshlrev_b64 v[0:1], 1, v[1:2]
	s_waitcnt lgkmcnt(0)
	v_mov_b32_e32 v2, s1
	v_add_co_u32_e32 v0, vcc, s0, v0
	v_addc_co_u32_e32 v1, vcc, v2, v1, vcc
	v_add_co_u32_e32 v0, vcc, v0, v3
	v_addc_co_u32_e32 v1, vcc, v1, v4, vcc
	s_waitcnt vmcnt(1)
	v_cvt_f32_f16_e32 v7, v8
	v_mul_f32_e32 v2, v5, v7
	s_waitcnt vmcnt(0)
	v_fma_mixlo_f16 v2, v2, v6, 0 op_sel_hi:[0,1,0]
	global_store_short v[0:1], v2, off
.LBB98_4:
	s_endpgm
	.section	.rodata,"a",@progbits
	.p2align	6, 0x0
	.amdhsa_kernel _ZL19k_bin_bcast_unravelIXadL_ZL6op_mulffEE6__halfS0_S0_JPKS0_S2_EEvPKT0_PKT1_PT2_15HIP_vector_typeIjLj3EESC_SC_jSC_SC_SC_SC_SC_SC_iiiiiiiiiiiDpT3_
		.amdhsa_group_segment_fixed_size 0
		.amdhsa_private_segment_fixed_size 0
		.amdhsa_kernarg_size 456
		.amdhsa_user_sgpr_count 6
		.amdhsa_user_sgpr_private_segment_buffer 1
		.amdhsa_user_sgpr_dispatch_ptr 0
		.amdhsa_user_sgpr_queue_ptr 0
		.amdhsa_user_sgpr_kernarg_segment_ptr 1
		.amdhsa_user_sgpr_dispatch_id 0
		.amdhsa_user_sgpr_flat_scratch_init 0
		.amdhsa_user_sgpr_private_segment_size 0
		.amdhsa_uses_dynamic_stack 0
		.amdhsa_system_sgpr_private_segment_wavefront_offset 0
		.amdhsa_system_sgpr_workgroup_id_x 1
		.amdhsa_system_sgpr_workgroup_id_y 0
		.amdhsa_system_sgpr_workgroup_id_z 0
		.amdhsa_system_sgpr_workgroup_info 0
		.amdhsa_system_vgpr_workitem_id 0
		.amdhsa_next_free_vgpr 11
		.amdhsa_next_free_sgpr 28
		.amdhsa_reserve_vcc 1
		.amdhsa_reserve_flat_scratch 0
		.amdhsa_float_round_mode_32 0
		.amdhsa_float_round_mode_16_64 0
		.amdhsa_float_denorm_mode_32 3
		.amdhsa_float_denorm_mode_16_64 3
		.amdhsa_dx10_clamp 1
		.amdhsa_ieee_mode 1
		.amdhsa_fp16_overflow 0
		.amdhsa_exception_fp_ieee_invalid_op 0
		.amdhsa_exception_fp_denorm_src 0
		.amdhsa_exception_fp_ieee_div_zero 0
		.amdhsa_exception_fp_ieee_overflow 0
		.amdhsa_exception_fp_ieee_underflow 0
		.amdhsa_exception_fp_ieee_inexact 0
		.amdhsa_exception_int_div_zero 0
	.end_amdhsa_kernel
	.section	.text._ZL19k_bin_bcast_unravelIXadL_ZL6op_mulffEE6__halfS0_S0_JPKS0_S2_EEvPKT0_PKT1_PT2_15HIP_vector_typeIjLj3EESC_SC_jSC_SC_SC_SC_SC_SC_iiiiiiiiiiiDpT3_,"axG",@progbits,_ZL19k_bin_bcast_unravelIXadL_ZL6op_mulffEE6__halfS0_S0_JPKS0_S2_EEvPKT0_PKT1_PT2_15HIP_vector_typeIjLj3EESC_SC_jSC_SC_SC_SC_SC_SC_iiiiiiiiiiiDpT3_,comdat
.Lfunc_end98:
	.size	_ZL19k_bin_bcast_unravelIXadL_ZL6op_mulffEE6__halfS0_S0_JPKS0_S2_EEvPKT0_PKT1_PT2_15HIP_vector_typeIjLj3EESC_SC_jSC_SC_SC_SC_SC_SC_iiiiiiiiiiiDpT3_, .Lfunc_end98-_ZL19k_bin_bcast_unravelIXadL_ZL6op_mulffEE6__halfS0_S0_JPKS0_S2_EEvPKT0_PKT1_PT2_15HIP_vector_typeIjLj3EESC_SC_jSC_SC_SC_SC_SC_SC_iiiiiiiiiiiDpT3_
                                        ; -- End function
	.set _ZL19k_bin_bcast_unravelIXadL_ZL6op_mulffEE6__halfS0_S0_JPKS0_S2_EEvPKT0_PKT1_PT2_15HIP_vector_typeIjLj3EESC_SC_jSC_SC_SC_SC_SC_SC_iiiiiiiiiiiDpT3_.num_vgpr, 11
	.set _ZL19k_bin_bcast_unravelIXadL_ZL6op_mulffEE6__halfS0_S0_JPKS0_S2_EEvPKT0_PKT1_PT2_15HIP_vector_typeIjLj3EESC_SC_jSC_SC_SC_SC_SC_SC_iiiiiiiiiiiDpT3_.num_agpr, 0
	.set _ZL19k_bin_bcast_unravelIXadL_ZL6op_mulffEE6__halfS0_S0_JPKS0_S2_EEvPKT0_PKT1_PT2_15HIP_vector_typeIjLj3EESC_SC_jSC_SC_SC_SC_SC_SC_iiiiiiiiiiiDpT3_.numbered_sgpr, 28
	.set _ZL19k_bin_bcast_unravelIXadL_ZL6op_mulffEE6__halfS0_S0_JPKS0_S2_EEvPKT0_PKT1_PT2_15HIP_vector_typeIjLj3EESC_SC_jSC_SC_SC_SC_SC_SC_iiiiiiiiiiiDpT3_.num_named_barrier, 0
	.set _ZL19k_bin_bcast_unravelIXadL_ZL6op_mulffEE6__halfS0_S0_JPKS0_S2_EEvPKT0_PKT1_PT2_15HIP_vector_typeIjLj3EESC_SC_jSC_SC_SC_SC_SC_SC_iiiiiiiiiiiDpT3_.private_seg_size, 0
	.set _ZL19k_bin_bcast_unravelIXadL_ZL6op_mulffEE6__halfS0_S0_JPKS0_S2_EEvPKT0_PKT1_PT2_15HIP_vector_typeIjLj3EESC_SC_jSC_SC_SC_SC_SC_SC_iiiiiiiiiiiDpT3_.uses_vcc, 1
	.set _ZL19k_bin_bcast_unravelIXadL_ZL6op_mulffEE6__halfS0_S0_JPKS0_S2_EEvPKT0_PKT1_PT2_15HIP_vector_typeIjLj3EESC_SC_jSC_SC_SC_SC_SC_SC_iiiiiiiiiiiDpT3_.uses_flat_scratch, 0
	.set _ZL19k_bin_bcast_unravelIXadL_ZL6op_mulffEE6__halfS0_S0_JPKS0_S2_EEvPKT0_PKT1_PT2_15HIP_vector_typeIjLj3EESC_SC_jSC_SC_SC_SC_SC_SC_iiiiiiiiiiiDpT3_.has_dyn_sized_stack, 0
	.set _ZL19k_bin_bcast_unravelIXadL_ZL6op_mulffEE6__halfS0_S0_JPKS0_S2_EEvPKT0_PKT1_PT2_15HIP_vector_typeIjLj3EESC_SC_jSC_SC_SC_SC_SC_SC_iiiiiiiiiiiDpT3_.has_recursion, 0
	.set _ZL19k_bin_bcast_unravelIXadL_ZL6op_mulffEE6__halfS0_S0_JPKS0_S2_EEvPKT0_PKT1_PT2_15HIP_vector_typeIjLj3EESC_SC_jSC_SC_SC_SC_SC_SC_iiiiiiiiiiiDpT3_.has_indirect_call, 0
	.section	.AMDGPU.csdata,"",@progbits
; Kernel info:
; codeLenInByte = 692
; TotalNumSgprs: 32
; NumVgprs: 11
; ScratchSize: 0
; MemoryBound: 0
; FloatMode: 240
; IeeeMode: 1
; LDSByteSize: 0 bytes/workgroup (compile time only)
; SGPRBlocks: 3
; VGPRBlocks: 2
; NumSGPRsForWavesPerEU: 32
; NumVGPRsForWavesPerEU: 11
; Occupancy: 10
; WaveLimiterHint : 1
; COMPUTE_PGM_RSRC2:SCRATCH_EN: 0
; COMPUTE_PGM_RSRC2:USER_SGPR: 6
; COMPUTE_PGM_RSRC2:TRAP_HANDLER: 0
; COMPUTE_PGM_RSRC2:TGID_X_EN: 1
; COMPUTE_PGM_RSRC2:TGID_Y_EN: 0
; COMPUTE_PGM_RSRC2:TGID_Z_EN: 0
; COMPUTE_PGM_RSRC2:TIDIG_COMP_CNT: 0
	.section	.text._ZL11k_bin_bcastIXadL_ZL6op_mulffEE6__halfS0_S0_JPKS0_S2_EEvPKT0_PKT1_PT2_iii15HIP_vector_typeIjLj3EESC_SC_SC_SC_iiiiiiiiiiiDpT3_,"axG",@progbits,_ZL11k_bin_bcastIXadL_ZL6op_mulffEE6__halfS0_S0_JPKS0_S2_EEvPKT0_PKT1_PT2_iii15HIP_vector_typeIjLj3EESC_SC_SC_SC_iiiiiiiiiiiDpT3_,comdat
	.globl	_ZL11k_bin_bcastIXadL_ZL6op_mulffEE6__halfS0_S0_JPKS0_S2_EEvPKT0_PKT1_PT2_iii15HIP_vector_typeIjLj3EESC_SC_SC_SC_iiiiiiiiiiiDpT3_ ; -- Begin function _ZL11k_bin_bcastIXadL_ZL6op_mulffEE6__halfS0_S0_JPKS0_S2_EEvPKT0_PKT1_PT2_iii15HIP_vector_typeIjLj3EESC_SC_SC_SC_iiiiiiiiiiiDpT3_
	.p2align	8
	.type	_ZL11k_bin_bcastIXadL_ZL6op_mulffEE6__halfS0_S0_JPKS0_S2_EEvPKT0_PKT1_PT2_iii15HIP_vector_typeIjLj3EESC_SC_SC_SC_iiiiiiiiiiiDpT3_,@function
_ZL11k_bin_bcastIXadL_ZL6op_mulffEE6__halfS0_S0_JPKS0_S2_EEvPKT0_PKT1_PT2_iii15HIP_vector_typeIjLj3EESC_SC_SC_SC_iiiiiiiiiiiDpT3_: ; @_ZL11k_bin_bcastIXadL_ZL6op_mulffEE6__halfS0_S0_JPKS0_S2_EEvPKT0_PKT1_PT2_iii15HIP_vector_typeIjLj3EESC_SC_SC_SC_iiiiiiiiiiiDpT3_
; %bb.0:
	s_load_dwordx2 s[0:1], s[4:5], 0xac
	s_load_dwordx8 s[12:19], s[4:5], 0x18
	s_add_u32 s2, s4, 0xa0
	s_addc_u32 s3, s5, 0
	s_waitcnt lgkmcnt(0)
	s_and_b32 s1, s1, 0xffff
	s_mul_i32 s8, s8, s1
	v_add_u32_e32 v3, s8, v2
	v_mul_hi_u32 v2, v3, s15
	s_lshr_b32 s1, s0, 16
	s_and_b32 s8, s0, 0xffff
	s_mul_i32 s6, s6, s8
	v_add_u32_e32 v2, v3, v2
	v_lshrrev_b32_e32 v2, s16, v2
	v_mul_lo_u32 v4, v2, s17
	s_mul_i32 s7, s7, s1
	v_add_u32_e32 v0, s6, v0
	v_add_u32_e32 v1, s7, v1
	v_cmp_gt_u32_e32 vcc, s12, v0
	v_cmp_gt_u32_e64 s[0:1], s13, v1
	v_sub_u32_e32 v3, v3, v4
	s_and_b64 s[0:1], vcc, s[0:1]
	v_cmp_gt_u32_e32 vcc, s14, v2
	s_and_b64 s[0:1], s[0:1], vcc
	v_cmp_gt_u32_e32 vcc, s17, v3
	s_and_b64 s[0:1], s[0:1], vcc
	s_and_saveexec_b64 s[6:7], s[0:1]
	s_cbranch_execz .LBB99_6
; %bb.1:
	v_cmp_gt_i32_e32 vcc, s12, v0
	s_and_b64 exec, exec, vcc
	s_cbranch_execz .LBB99_6
; %bb.2:
	s_load_dwordx8 s[44:51], s[4:5], 0x3c
	s_load_dwordx8 s[20:27], s[4:5], 0x60
	;; [unrolled: 1-line block ×3, first 2 shown]
	s_load_dword s6, s[2:3], 0x0
	s_load_dword s0, s[4:5], 0x5c
	s_waitcnt lgkmcnt(0)
	v_mul_hi_u32 v4, s44, v1
	v_mul_hi_u32 v5, s47, v2
	;; [unrolled: 1-line block ×3, first 2 shown]
	v_mul_lo_u32 v7, v3, s26
	v_add_u32_e32 v4, v1, v4
	v_add_u32_e32 v5, v2, v5
	;; [unrolled: 1-line block ×3, first 2 shown]
	v_lshrrev_b32_e32 v4, s45, v4
	v_lshrrev_b32_e32 v5, s48, v5
	v_lshrrev_b32_e32 v6, s51, v6
	v_mul_lo_u32 v4, v4, s46
	v_mul_lo_u32 v5, v5, s49
	;; [unrolled: 1-line block ×5, first 2 shown]
	v_sub_u32_e32 v4, v1, v4
	v_sub_u32_e32 v5, v2, v5
	;; [unrolled: 1-line block ×3, first 2 shown]
	s_load_dword s9, s[4:5], 0x38
	s_load_dwordx2 s[0:1], s[4:5], 0x0
	s_load_dwordx2 s[2:3], s[4:5], 0x10
	v_mul_lo_u32 v6, v6, s38
	v_mul_lo_u32 v5, v5, s37
	;; [unrolled: 1-line block ×6, first 2 shown]
	v_add3_u32 v1, v8, v9, v7
	v_mov_b32_e32 v2, 0
	v_mov_b32_e32 v8, v2
	v_lshlrev_b64 v[1:2], 1, v[1:2]
	v_add3_u32 v4, v5, v6, v4
	v_add3_u32 v7, v10, v11, v3
	s_waitcnt lgkmcnt(0)
	v_mov_b32_e32 v3, s1
	v_add_co_u32_e32 v5, vcc, s0, v1
	v_addc_co_u32_e32 v6, vcc, v3, v2, vcc
	v_lshlrev_b64 v[1:2], 1, v[7:8]
	v_mov_b32_e32 v3, s3
	v_add_co_u32_e32 v7, vcc, s2, v1
	v_addc_co_u32_e32 v8, vcc, v3, v2, vcc
	s_cmp_lg_u64 s[0:1], 0
	v_mul_lo_u32 v2, s23, v0
	s_cselect_b64 s[0:1], -1, 0
	s_mul_i32 s6, s6, s8
	v_cndmask_b32_e64 v1, 0, 1, s[0:1]
	s_mov_b64 s[4:5], 0
	s_mul_i32 s7, s6, s23
	s_sub_i32 s8, 0, s9
	v_cmp_ne_u32_e64 s[0:1], 1, v1
	v_mov_b32_e32 v9, s41
	v_mov_b32_e32 v10, s43
	s_branch .LBB99_4
.LBB99_3:                               ;   in Loop: Header=BB99_4 Depth=1
	v_mul_hi_u32 v1, s18, v0
	v_add_u32_e32 v2, s7, v2
	v_add_u32_e32 v1, v0, v1
	v_lshrrev_b32_e32 v1, s19, v1
	v_mad_u64_u32 v[11:12], s[2:3], s8, v1, v[0:1]
	v_mul_lo_u32 v1, v11, s27
	v_add_co_u32_e32 v11, vcc, v1, v4
	v_addc_co_u32_e64 v12, s[2:3], 0, 0, vcc
	v_lshlrev_b64 v[11:12], 1, v[11:12]
	v_ashrrev_i32_e32 v1, 31, v0
	v_add_co_u32_e32 v13, vcc, s40, v11
	v_addc_co_u32_e32 v14, vcc, v9, v12, vcc
	global_load_ushort v13, v[13:14], off
	v_add_co_u32_e32 v11, vcc, s42, v11
	v_addc_co_u32_e32 v12, vcc, v10, v12, vcc
	global_load_ushort v14, v[11:12], off
	v_lshlrev_b64 v[11:12], 1, v[0:1]
	v_add_u32_e32 v0, s6, v0
	v_cmp_le_i32_e32 vcc, s12, v0
	v_add_co_u32_e64 v11, s[2:3], v7, v11
	v_addc_co_u32_e64 v12, s[2:3], v8, v12, s[2:3]
	s_or_b64 s[4:5], vcc, s[4:5]
	s_waitcnt vmcnt(1)
	v_cvt_f32_f16_e32 v1, v13
	v_mul_f32_e32 v1, v3, v1
	s_waitcnt vmcnt(0)
	v_fma_mixlo_f16 v1, v1, v14, 0 op_sel_hi:[0,1,0]
	global_store_short v[11:12], v1, off
	s_andn2_b64 exec, exec, s[4:5]
	s_cbranch_execz .LBB99_6
.LBB99_4:                               ; =>This Inner Loop Header: Depth=1
	s_and_b64 vcc, exec, s[0:1]
	v_mov_b32_e32 v3, 0
	s_cbranch_vccnz .LBB99_3
; %bb.5:                                ;   in Loop: Header=BB99_4 Depth=1
	v_ashrrev_i32_e32 v3, 31, v2
	v_lshlrev_b64 v[11:12], 1, v[2:3]
	v_add_co_u32_e32 v11, vcc, v5, v11
	v_addc_co_u32_e32 v12, vcc, v6, v12, vcc
	global_load_ushort v1, v[11:12], off
	s_waitcnt vmcnt(0)
	v_cvt_f32_f16_e32 v3, v1
	s_branch .LBB99_3
.LBB99_6:
	s_endpgm
	.section	.rodata,"a",@progbits
	.p2align	6, 0x0
	.amdhsa_kernel _ZL11k_bin_bcastIXadL_ZL6op_mulffEE6__halfS0_S0_JPKS0_S2_EEvPKT0_PKT1_PT2_iii15HIP_vector_typeIjLj3EESC_SC_SC_SC_iiiiiiiiiiiDpT3_
		.amdhsa_group_segment_fixed_size 0
		.amdhsa_private_segment_fixed_size 0
		.amdhsa_kernarg_size 416
		.amdhsa_user_sgpr_count 6
		.amdhsa_user_sgpr_private_segment_buffer 1
		.amdhsa_user_sgpr_dispatch_ptr 0
		.amdhsa_user_sgpr_queue_ptr 0
		.amdhsa_user_sgpr_kernarg_segment_ptr 1
		.amdhsa_user_sgpr_dispatch_id 0
		.amdhsa_user_sgpr_flat_scratch_init 0
		.amdhsa_user_sgpr_private_segment_size 0
		.amdhsa_uses_dynamic_stack 0
		.amdhsa_system_sgpr_private_segment_wavefront_offset 0
		.amdhsa_system_sgpr_workgroup_id_x 1
		.amdhsa_system_sgpr_workgroup_id_y 1
		.amdhsa_system_sgpr_workgroup_id_z 1
		.amdhsa_system_sgpr_workgroup_info 0
		.amdhsa_system_vgpr_workitem_id 2
		.amdhsa_next_free_vgpr 15
		.amdhsa_next_free_sgpr 52
		.amdhsa_reserve_vcc 1
		.amdhsa_reserve_flat_scratch 0
		.amdhsa_float_round_mode_32 0
		.amdhsa_float_round_mode_16_64 0
		.amdhsa_float_denorm_mode_32 3
		.amdhsa_float_denorm_mode_16_64 3
		.amdhsa_dx10_clamp 1
		.amdhsa_ieee_mode 1
		.amdhsa_fp16_overflow 0
		.amdhsa_exception_fp_ieee_invalid_op 0
		.amdhsa_exception_fp_denorm_src 0
		.amdhsa_exception_fp_ieee_div_zero 0
		.amdhsa_exception_fp_ieee_overflow 0
		.amdhsa_exception_fp_ieee_underflow 0
		.amdhsa_exception_fp_ieee_inexact 0
		.amdhsa_exception_int_div_zero 0
	.end_amdhsa_kernel
	.section	.text._ZL11k_bin_bcastIXadL_ZL6op_mulffEE6__halfS0_S0_JPKS0_S2_EEvPKT0_PKT1_PT2_iii15HIP_vector_typeIjLj3EESC_SC_SC_SC_iiiiiiiiiiiDpT3_,"axG",@progbits,_ZL11k_bin_bcastIXadL_ZL6op_mulffEE6__halfS0_S0_JPKS0_S2_EEvPKT0_PKT1_PT2_iii15HIP_vector_typeIjLj3EESC_SC_SC_SC_iiiiiiiiiiiDpT3_,comdat
.Lfunc_end99:
	.size	_ZL11k_bin_bcastIXadL_ZL6op_mulffEE6__halfS0_S0_JPKS0_S2_EEvPKT0_PKT1_PT2_iii15HIP_vector_typeIjLj3EESC_SC_SC_SC_iiiiiiiiiiiDpT3_, .Lfunc_end99-_ZL11k_bin_bcastIXadL_ZL6op_mulffEE6__halfS0_S0_JPKS0_S2_EEvPKT0_PKT1_PT2_iii15HIP_vector_typeIjLj3EESC_SC_SC_SC_iiiiiiiiiiiDpT3_
                                        ; -- End function
	.set _ZL11k_bin_bcastIXadL_ZL6op_mulffEE6__halfS0_S0_JPKS0_S2_EEvPKT0_PKT1_PT2_iii15HIP_vector_typeIjLj3EESC_SC_SC_SC_iiiiiiiiiiiDpT3_.num_vgpr, 15
	.set _ZL11k_bin_bcastIXadL_ZL6op_mulffEE6__halfS0_S0_JPKS0_S2_EEvPKT0_PKT1_PT2_iii15HIP_vector_typeIjLj3EESC_SC_SC_SC_iiiiiiiiiiiDpT3_.num_agpr, 0
	.set _ZL11k_bin_bcastIXadL_ZL6op_mulffEE6__halfS0_S0_JPKS0_S2_EEvPKT0_PKT1_PT2_iii15HIP_vector_typeIjLj3EESC_SC_SC_SC_iiiiiiiiiiiDpT3_.numbered_sgpr, 52
	.set _ZL11k_bin_bcastIXadL_ZL6op_mulffEE6__halfS0_S0_JPKS0_S2_EEvPKT0_PKT1_PT2_iii15HIP_vector_typeIjLj3EESC_SC_SC_SC_iiiiiiiiiiiDpT3_.num_named_barrier, 0
	.set _ZL11k_bin_bcastIXadL_ZL6op_mulffEE6__halfS0_S0_JPKS0_S2_EEvPKT0_PKT1_PT2_iii15HIP_vector_typeIjLj3EESC_SC_SC_SC_iiiiiiiiiiiDpT3_.private_seg_size, 0
	.set _ZL11k_bin_bcastIXadL_ZL6op_mulffEE6__halfS0_S0_JPKS0_S2_EEvPKT0_PKT1_PT2_iii15HIP_vector_typeIjLj3EESC_SC_SC_SC_iiiiiiiiiiiDpT3_.uses_vcc, 1
	.set _ZL11k_bin_bcastIXadL_ZL6op_mulffEE6__halfS0_S0_JPKS0_S2_EEvPKT0_PKT1_PT2_iii15HIP_vector_typeIjLj3EESC_SC_SC_SC_iiiiiiiiiiiDpT3_.uses_flat_scratch, 0
	.set _ZL11k_bin_bcastIXadL_ZL6op_mulffEE6__halfS0_S0_JPKS0_S2_EEvPKT0_PKT1_PT2_iii15HIP_vector_typeIjLj3EESC_SC_SC_SC_iiiiiiiiiiiDpT3_.has_dyn_sized_stack, 0
	.set _ZL11k_bin_bcastIXadL_ZL6op_mulffEE6__halfS0_S0_JPKS0_S2_EEvPKT0_PKT1_PT2_iii15HIP_vector_typeIjLj3EESC_SC_SC_SC_iiiiiiiiiiiDpT3_.has_recursion, 0
	.set _ZL11k_bin_bcastIXadL_ZL6op_mulffEE6__halfS0_S0_JPKS0_S2_EEvPKT0_PKT1_PT2_iii15HIP_vector_typeIjLj3EESC_SC_SC_SC_iiiiiiiiiiiDpT3_.has_indirect_call, 0
	.section	.AMDGPU.csdata,"",@progbits
; Kernel info:
; codeLenInByte = 740
; TotalNumSgprs: 56
; NumVgprs: 15
; ScratchSize: 0
; MemoryBound: 0
; FloatMode: 240
; IeeeMode: 1
; LDSByteSize: 0 bytes/workgroup (compile time only)
; SGPRBlocks: 6
; VGPRBlocks: 3
; NumSGPRsForWavesPerEU: 56
; NumVGPRsForWavesPerEU: 15
; Occupancy: 10
; WaveLimiterHint : 1
; COMPUTE_PGM_RSRC2:SCRATCH_EN: 0
; COMPUTE_PGM_RSRC2:USER_SGPR: 6
; COMPUTE_PGM_RSRC2:TRAP_HANDLER: 0
; COMPUTE_PGM_RSRC2:TGID_X_EN: 1
; COMPUTE_PGM_RSRC2:TGID_Y_EN: 1
; COMPUTE_PGM_RSRC2:TGID_Z_EN: 1
; COMPUTE_PGM_RSRC2:TIDIG_COMP_CNT: 2
	.section	.text._ZL19k_bin_bcast_unravelIXadL_ZL6op_mulffEE6__halffS0_JPKfS2_EEvPKT0_PKT1_PT2_15HIP_vector_typeIjLj3EESC_SC_jSC_SC_SC_SC_SC_SC_iiiiiiiiiiiDpT3_,"axG",@progbits,_ZL19k_bin_bcast_unravelIXadL_ZL6op_mulffEE6__halffS0_JPKfS2_EEvPKT0_PKT1_PT2_15HIP_vector_typeIjLj3EESC_SC_jSC_SC_SC_SC_SC_SC_iiiiiiiiiiiDpT3_,comdat
	.globl	_ZL19k_bin_bcast_unravelIXadL_ZL6op_mulffEE6__halffS0_JPKfS2_EEvPKT0_PKT1_PT2_15HIP_vector_typeIjLj3EESC_SC_jSC_SC_SC_SC_SC_SC_iiiiiiiiiiiDpT3_ ; -- Begin function _ZL19k_bin_bcast_unravelIXadL_ZL6op_mulffEE6__halffS0_JPKfS2_EEvPKT0_PKT1_PT2_15HIP_vector_typeIjLj3EESC_SC_jSC_SC_SC_SC_SC_SC_iiiiiiiiiiiDpT3_
	.p2align	8
	.type	_ZL19k_bin_bcast_unravelIXadL_ZL6op_mulffEE6__halffS0_JPKfS2_EEvPKT0_PKT1_PT2_15HIP_vector_typeIjLj3EESC_SC_jSC_SC_SC_SC_SC_SC_iiiiiiiiiiiDpT3_,@function
_ZL19k_bin_bcast_unravelIXadL_ZL6op_mulffEE6__halffS0_JPKfS2_EEvPKT0_PKT1_PT2_15HIP_vector_typeIjLj3EESC_SC_jSC_SC_SC_SC_SC_SC_iiiiiiiiiiiDpT3_: ; @_ZL19k_bin_bcast_unravelIXadL_ZL6op_mulffEE6__halffS0_JPKfS2_EEvPKT0_PKT1_PT2_15HIP_vector_typeIjLj3EESC_SC_jSC_SC_SC_SC_SC_SC_iiiiiiiiiiiDpT3_
; %bb.0:
	s_load_dword s0, s[4:5], 0xd4
	s_load_dwordx8 s[8:15], s[4:5], 0x38
	s_waitcnt lgkmcnt(0)
	s_and_b32 s0, s0, 0xffff
	s_mul_i32 s6, s6, s0
	v_add_u32_e32 v0, s6, v0
	v_mul_hi_u32 v1, v0, s10
	s_load_dwordx4 s[0:3], s[4:5], 0x18
	s_waitcnt lgkmcnt(0)
	s_load_dword s3, s[4:5], 0x2c
	v_add_u32_e32 v1, v0, v1
	v_lshrrev_b32_e32 v1, s11, v1
	v_mul_lo_u32 v2, v1, s12
	v_sub_u32_e32 v0, v0, v2
	v_mul_hi_u32 v2, v0, s13
	v_add_u32_e32 v2, v0, v2
	v_lshrrev_b32_e32 v3, s14, v2
	v_mul_lo_u32 v2, v3, s15
	v_cmp_gt_u32_e32 vcc, s8, v3
	v_sub_u32_e32 v0, v0, v2
	v_mul_hi_u32 v2, v0, s0
	v_add_u32_e32 v2, v0, v2
	v_lshrrev_b32_e32 v4, s1, v2
	v_mul_lo_u32 v2, v4, s2
	s_waitcnt lgkmcnt(0)
	v_cmp_gt_u32_e64 s[0:1], s3, v4
	v_sub_u32_e32 v0, v0, v2
	v_cmp_gt_u32_e64 s[2:3], s2, v0
	s_and_b64 s[0:1], s[2:3], s[0:1]
	s_and_b64 s[0:1], s[0:1], vcc
	v_cmp_gt_u32_e32 vcc, s9, v1
	s_and_b64 s[0:1], vcc, s[0:1]
	s_and_saveexec_b64 s[2:3], s[0:1]
	s_cbranch_execz .LBB100_4
; %bb.1:
	s_load_dwordx2 s[6:7], s[4:5], 0x0
	s_load_dwordx4 s[0:3], s[4:5], 0xa8
	s_load_dwordx8 s[8:15], s[4:5], 0x88
	s_load_dwordx4 s[24:27], s[4:5], 0x78
	s_load_dwordx8 s[16:23], s[4:5], 0x58
	v_mov_b32_e32 v2, 0
	s_waitcnt lgkmcnt(0)
	s_cmp_eq_u64 s[6:7], 0
	v_mov_b32_e32 v5, 0
	s_cbranch_scc1 .LBB100_3
; %bb.2:
	v_mul_lo_u32 v5, v1, s14
	v_mul_lo_u32 v7, v3, s13
	;; [unrolled: 1-line block ×3, first 2 shown]
	v_mov_b32_e32 v6, 0
	v_mov_b32_e32 v9, s7
	v_add3_u32 v5, v7, v5, v8
	v_lshlrev_b64 v[7:8], 1, v[5:6]
	v_mul_lo_u32 v5, v0, s11
	v_add_co_u32_e32 v7, vcc, s6, v7
	v_addc_co_u32_e32 v8, vcc, v9, v8, vcc
	v_lshlrev_b64 v[5:6], 1, v[5:6]
	v_add_co_u32_e32 v5, vcc, v7, v5
	v_addc_co_u32_e32 v6, vcc, v8, v6, vcc
	global_load_ushort v5, v[5:6], off
	s_waitcnt vmcnt(0)
	v_cvt_f32_f16_e32 v5, v5
.LBB100_3:
	v_mul_hi_u32 v6, s19, v4
	v_mul_hi_u32 v7, s22, v3
	;; [unrolled: 1-line block ×4, first 2 shown]
	v_add_u32_e32 v6, v4, v6
	v_add_u32_e32 v7, v3, v7
	;; [unrolled: 1-line block ×3, first 2 shown]
	v_lshrrev_b32_e32 v6, s20, v6
	v_lshrrev_b32_e32 v7, s23, v7
	v_lshrrev_b32_e32 v8, s26, v8
	v_add_u32_e32 v9, v0, v9
	v_mul_lo_u32 v6, v6, s21
	v_mul_lo_u32 v7, v7, s24
	;; [unrolled: 1-line block ×3, first 2 shown]
	v_lshrrev_b32_e32 v9, s17, v9
	v_mul_lo_u32 v9, v9, s18
	v_sub_u32_e32 v6, v4, v6
	v_sub_u32_e32 v7, v3, v7
	;; [unrolled: 1-line block ×3, first 2 shown]
	v_mul_lo_u32 v8, v8, s2
	v_mul_lo_u32 v7, v7, s1
	;; [unrolled: 1-line block ×3, first 2 shown]
	v_sub_u32_e32 v9, v0, v9
	v_mul_lo_u32 v9, v9, s15
	s_load_dwordx4 s[0:3], s[4:5], 0xb8
	v_add3_u32 v6, v7, v8, v6
	v_ashrrev_i32_e32 v7, 31, v6
	v_ashrrev_i32_e32 v8, 31, v9
	v_add_co_u32_e32 v6, vcc, v9, v6
	v_addc_co_u32_e32 v7, vcc, v8, v7, vcc
	v_lshlrev_b64 v[6:7], 2, v[6:7]
	s_waitcnt lgkmcnt(0)
	v_mov_b32_e32 v9, s1
	v_add_co_u32_e32 v8, vcc, s0, v6
	v_addc_co_u32_e32 v9, vcc, v9, v7, vcc
	global_load_dword v8, v[8:9], off
	v_mov_b32_e32 v9, s3
	v_add_co_u32_e32 v6, vcc, s2, v6
	v_addc_co_u32_e32 v7, vcc, v9, v7, vcc
	global_load_dword v6, v[6:7], off
	v_mul_lo_u32 v7, v1, s10
	v_mul_lo_u32 v9, v3, s9
	;; [unrolled: 1-line block ×3, first 2 shown]
	s_load_dwordx2 s[0:1], s[4:5], 0x10
	v_mov_b32_e32 v1, v2
	v_lshlrev_b64 v[3:4], 1, v[0:1]
	v_add3_u32 v1, v9, v7, v10
	v_lshlrev_b64 v[0:1], 1, v[1:2]
	s_waitcnt lgkmcnt(0)
	v_mov_b32_e32 v2, s1
	v_add_co_u32_e32 v0, vcc, s0, v0
	v_addc_co_u32_e32 v1, vcc, v2, v1, vcc
	v_add_co_u32_e32 v0, vcc, v0, v3
	v_addc_co_u32_e32 v1, vcc, v1, v4, vcc
	s_waitcnt vmcnt(1)
	v_mul_f32_e32 v2, v5, v8
	s_waitcnt vmcnt(0)
	v_fma_mixlo_f16 v2, v2, v6, 0
	global_store_short v[0:1], v2, off
.LBB100_4:
	s_endpgm
	.section	.rodata,"a",@progbits
	.p2align	6, 0x0
	.amdhsa_kernel _ZL19k_bin_bcast_unravelIXadL_ZL6op_mulffEE6__halffS0_JPKfS2_EEvPKT0_PKT1_PT2_15HIP_vector_typeIjLj3EESC_SC_jSC_SC_SC_SC_SC_SC_iiiiiiiiiiiDpT3_
		.amdhsa_group_segment_fixed_size 0
		.amdhsa_private_segment_fixed_size 0
		.amdhsa_kernarg_size 456
		.amdhsa_user_sgpr_count 6
		.amdhsa_user_sgpr_private_segment_buffer 1
		.amdhsa_user_sgpr_dispatch_ptr 0
		.amdhsa_user_sgpr_queue_ptr 0
		.amdhsa_user_sgpr_kernarg_segment_ptr 1
		.amdhsa_user_sgpr_dispatch_id 0
		.amdhsa_user_sgpr_flat_scratch_init 0
		.amdhsa_user_sgpr_private_segment_size 0
		.amdhsa_uses_dynamic_stack 0
		.amdhsa_system_sgpr_private_segment_wavefront_offset 0
		.amdhsa_system_sgpr_workgroup_id_x 1
		.amdhsa_system_sgpr_workgroup_id_y 0
		.amdhsa_system_sgpr_workgroup_id_z 0
		.amdhsa_system_sgpr_workgroup_info 0
		.amdhsa_system_vgpr_workitem_id 0
		.amdhsa_next_free_vgpr 11
		.amdhsa_next_free_sgpr 28
		.amdhsa_reserve_vcc 1
		.amdhsa_reserve_flat_scratch 0
		.amdhsa_float_round_mode_32 0
		.amdhsa_float_round_mode_16_64 0
		.amdhsa_float_denorm_mode_32 3
		.amdhsa_float_denorm_mode_16_64 3
		.amdhsa_dx10_clamp 1
		.amdhsa_ieee_mode 1
		.amdhsa_fp16_overflow 0
		.amdhsa_exception_fp_ieee_invalid_op 0
		.amdhsa_exception_fp_denorm_src 0
		.amdhsa_exception_fp_ieee_div_zero 0
		.amdhsa_exception_fp_ieee_overflow 0
		.amdhsa_exception_fp_ieee_underflow 0
		.amdhsa_exception_fp_ieee_inexact 0
		.amdhsa_exception_int_div_zero 0
	.end_amdhsa_kernel
	.section	.text._ZL19k_bin_bcast_unravelIXadL_ZL6op_mulffEE6__halffS0_JPKfS2_EEvPKT0_PKT1_PT2_15HIP_vector_typeIjLj3EESC_SC_jSC_SC_SC_SC_SC_SC_iiiiiiiiiiiDpT3_,"axG",@progbits,_ZL19k_bin_bcast_unravelIXadL_ZL6op_mulffEE6__halffS0_JPKfS2_EEvPKT0_PKT1_PT2_15HIP_vector_typeIjLj3EESC_SC_jSC_SC_SC_SC_SC_SC_iiiiiiiiiiiDpT3_,comdat
.Lfunc_end100:
	.size	_ZL19k_bin_bcast_unravelIXadL_ZL6op_mulffEE6__halffS0_JPKfS2_EEvPKT0_PKT1_PT2_15HIP_vector_typeIjLj3EESC_SC_jSC_SC_SC_SC_SC_SC_iiiiiiiiiiiDpT3_, .Lfunc_end100-_ZL19k_bin_bcast_unravelIXadL_ZL6op_mulffEE6__halffS0_JPKfS2_EEvPKT0_PKT1_PT2_15HIP_vector_typeIjLj3EESC_SC_jSC_SC_SC_SC_SC_SC_iiiiiiiiiiiDpT3_
                                        ; -- End function
	.set _ZL19k_bin_bcast_unravelIXadL_ZL6op_mulffEE6__halffS0_JPKfS2_EEvPKT0_PKT1_PT2_15HIP_vector_typeIjLj3EESC_SC_jSC_SC_SC_SC_SC_SC_iiiiiiiiiiiDpT3_.num_vgpr, 11
	.set _ZL19k_bin_bcast_unravelIXadL_ZL6op_mulffEE6__halffS0_JPKfS2_EEvPKT0_PKT1_PT2_15HIP_vector_typeIjLj3EESC_SC_jSC_SC_SC_SC_SC_SC_iiiiiiiiiiiDpT3_.num_agpr, 0
	.set _ZL19k_bin_bcast_unravelIXadL_ZL6op_mulffEE6__halffS0_JPKfS2_EEvPKT0_PKT1_PT2_15HIP_vector_typeIjLj3EESC_SC_jSC_SC_SC_SC_SC_SC_iiiiiiiiiiiDpT3_.numbered_sgpr, 28
	.set _ZL19k_bin_bcast_unravelIXadL_ZL6op_mulffEE6__halffS0_JPKfS2_EEvPKT0_PKT1_PT2_15HIP_vector_typeIjLj3EESC_SC_jSC_SC_SC_SC_SC_SC_iiiiiiiiiiiDpT3_.num_named_barrier, 0
	.set _ZL19k_bin_bcast_unravelIXadL_ZL6op_mulffEE6__halffS0_JPKfS2_EEvPKT0_PKT1_PT2_15HIP_vector_typeIjLj3EESC_SC_jSC_SC_SC_SC_SC_SC_iiiiiiiiiiiDpT3_.private_seg_size, 0
	.set _ZL19k_bin_bcast_unravelIXadL_ZL6op_mulffEE6__halffS0_JPKfS2_EEvPKT0_PKT1_PT2_15HIP_vector_typeIjLj3EESC_SC_jSC_SC_SC_SC_SC_SC_iiiiiiiiiiiDpT3_.uses_vcc, 1
	.set _ZL19k_bin_bcast_unravelIXadL_ZL6op_mulffEE6__halffS0_JPKfS2_EEvPKT0_PKT1_PT2_15HIP_vector_typeIjLj3EESC_SC_jSC_SC_SC_SC_SC_SC_iiiiiiiiiiiDpT3_.uses_flat_scratch, 0
	.set _ZL19k_bin_bcast_unravelIXadL_ZL6op_mulffEE6__halffS0_JPKfS2_EEvPKT0_PKT1_PT2_15HIP_vector_typeIjLj3EESC_SC_jSC_SC_SC_SC_SC_SC_iiiiiiiiiiiDpT3_.has_dyn_sized_stack, 0
	.set _ZL19k_bin_bcast_unravelIXadL_ZL6op_mulffEE6__halffS0_JPKfS2_EEvPKT0_PKT1_PT2_15HIP_vector_typeIjLj3EESC_SC_jSC_SC_SC_SC_SC_SC_iiiiiiiiiiiDpT3_.has_recursion, 0
	.set _ZL19k_bin_bcast_unravelIXadL_ZL6op_mulffEE6__halffS0_JPKfS2_EEvPKT0_PKT1_PT2_15HIP_vector_typeIjLj3EESC_SC_jSC_SC_SC_SC_SC_SC_iiiiiiiiiiiDpT3_.has_indirect_call, 0
	.section	.AMDGPU.csdata,"",@progbits
; Kernel info:
; codeLenInByte = 688
; TotalNumSgprs: 32
; NumVgprs: 11
; ScratchSize: 0
; MemoryBound: 0
; FloatMode: 240
; IeeeMode: 1
; LDSByteSize: 0 bytes/workgroup (compile time only)
; SGPRBlocks: 3
; VGPRBlocks: 2
; NumSGPRsForWavesPerEU: 32
; NumVGPRsForWavesPerEU: 11
; Occupancy: 10
; WaveLimiterHint : 1
; COMPUTE_PGM_RSRC2:SCRATCH_EN: 0
; COMPUTE_PGM_RSRC2:USER_SGPR: 6
; COMPUTE_PGM_RSRC2:TRAP_HANDLER: 0
; COMPUTE_PGM_RSRC2:TGID_X_EN: 1
; COMPUTE_PGM_RSRC2:TGID_Y_EN: 0
; COMPUTE_PGM_RSRC2:TGID_Z_EN: 0
; COMPUTE_PGM_RSRC2:TIDIG_COMP_CNT: 0
	.section	.text._ZL11k_bin_bcastIXadL_ZL6op_mulffEE6__halffS0_JPKfS2_EEvPKT0_PKT1_PT2_iii15HIP_vector_typeIjLj3EESC_SC_SC_SC_iiiiiiiiiiiDpT3_,"axG",@progbits,_ZL11k_bin_bcastIXadL_ZL6op_mulffEE6__halffS0_JPKfS2_EEvPKT0_PKT1_PT2_iii15HIP_vector_typeIjLj3EESC_SC_SC_SC_iiiiiiiiiiiDpT3_,comdat
	.globl	_ZL11k_bin_bcastIXadL_ZL6op_mulffEE6__halffS0_JPKfS2_EEvPKT0_PKT1_PT2_iii15HIP_vector_typeIjLj3EESC_SC_SC_SC_iiiiiiiiiiiDpT3_ ; -- Begin function _ZL11k_bin_bcastIXadL_ZL6op_mulffEE6__halffS0_JPKfS2_EEvPKT0_PKT1_PT2_iii15HIP_vector_typeIjLj3EESC_SC_SC_SC_iiiiiiiiiiiDpT3_
	.p2align	8
	.type	_ZL11k_bin_bcastIXadL_ZL6op_mulffEE6__halffS0_JPKfS2_EEvPKT0_PKT1_PT2_iii15HIP_vector_typeIjLj3EESC_SC_SC_SC_iiiiiiiiiiiDpT3_,@function
_ZL11k_bin_bcastIXadL_ZL6op_mulffEE6__halffS0_JPKfS2_EEvPKT0_PKT1_PT2_iii15HIP_vector_typeIjLj3EESC_SC_SC_SC_iiiiiiiiiiiDpT3_: ; @_ZL11k_bin_bcastIXadL_ZL6op_mulffEE6__halffS0_JPKfS2_EEvPKT0_PKT1_PT2_iii15HIP_vector_typeIjLj3EESC_SC_SC_SC_iiiiiiiiiiiDpT3_
; %bb.0:
	s_load_dwordx2 s[0:1], s[4:5], 0xac
	s_load_dwordx8 s[12:19], s[4:5], 0x18
	s_add_u32 s2, s4, 0xa0
	s_addc_u32 s3, s5, 0
	s_waitcnt lgkmcnt(0)
	s_and_b32 s1, s1, 0xffff
	s_mul_i32 s8, s8, s1
	v_add_u32_e32 v3, s8, v2
	v_mul_hi_u32 v2, v3, s15
	s_lshr_b32 s1, s0, 16
	s_and_b32 s8, s0, 0xffff
	s_mul_i32 s6, s6, s8
	v_add_u32_e32 v2, v3, v2
	v_lshrrev_b32_e32 v2, s16, v2
	v_mul_lo_u32 v4, v2, s17
	s_mul_i32 s7, s7, s1
	v_add_u32_e32 v0, s6, v0
	v_add_u32_e32 v1, s7, v1
	v_cmp_gt_u32_e32 vcc, s12, v0
	v_cmp_gt_u32_e64 s[0:1], s13, v1
	v_sub_u32_e32 v3, v3, v4
	s_and_b64 s[0:1], vcc, s[0:1]
	v_cmp_gt_u32_e32 vcc, s14, v2
	s_and_b64 s[0:1], s[0:1], vcc
	v_cmp_gt_u32_e32 vcc, s17, v3
	s_and_b64 s[0:1], s[0:1], vcc
	s_and_saveexec_b64 s[6:7], s[0:1]
	s_cbranch_execz .LBB101_6
; %bb.1:
	v_cmp_gt_i32_e32 vcc, s12, v0
	s_and_b64 exec, exec, vcc
	s_cbranch_execz .LBB101_6
; %bb.2:
	s_load_dwordx8 s[44:51], s[4:5], 0x3c
	s_load_dwordx8 s[20:27], s[4:5], 0x60
	;; [unrolled: 1-line block ×3, first 2 shown]
	s_load_dword s6, s[2:3], 0x0
	s_load_dword s0, s[4:5], 0x5c
	s_waitcnt lgkmcnt(0)
	v_mul_hi_u32 v4, s44, v1
	v_mul_hi_u32 v5, s47, v2
	;; [unrolled: 1-line block ×3, first 2 shown]
	v_mul_lo_u32 v7, v3, s26
	v_add_u32_e32 v4, v1, v4
	v_add_u32_e32 v5, v2, v5
	;; [unrolled: 1-line block ×3, first 2 shown]
	v_lshrrev_b32_e32 v4, s45, v4
	v_lshrrev_b32_e32 v5, s48, v5
	v_lshrrev_b32_e32 v6, s51, v6
	v_mul_lo_u32 v4, v4, s46
	v_mul_lo_u32 v5, v5, s49
	;; [unrolled: 1-line block ×5, first 2 shown]
	v_sub_u32_e32 v4, v1, v4
	v_sub_u32_e32 v5, v2, v5
	;; [unrolled: 1-line block ×3, first 2 shown]
	s_load_dword s9, s[4:5], 0x38
	s_load_dwordx2 s[0:1], s[4:5], 0x0
	s_load_dwordx2 s[2:3], s[4:5], 0x10
	v_mul_lo_u32 v6, v6, s38
	v_mul_lo_u32 v5, v5, s37
	;; [unrolled: 1-line block ×6, first 2 shown]
	v_add3_u32 v1, v8, v9, v7
	v_mov_b32_e32 v2, 0
	v_mov_b32_e32 v8, v2
	v_lshlrev_b64 v[1:2], 1, v[1:2]
	v_add3_u32 v4, v5, v6, v4
	v_add3_u32 v7, v10, v11, v3
	s_waitcnt lgkmcnt(0)
	v_mov_b32_e32 v3, s1
	v_add_co_u32_e32 v5, vcc, s0, v1
	v_addc_co_u32_e32 v6, vcc, v3, v2, vcc
	v_lshlrev_b64 v[1:2], 1, v[7:8]
	v_mov_b32_e32 v3, s3
	v_add_co_u32_e32 v7, vcc, s2, v1
	v_addc_co_u32_e32 v8, vcc, v3, v2, vcc
	s_cmp_lg_u64 s[0:1], 0
	v_mul_lo_u32 v2, s23, v0
	s_cselect_b64 s[0:1], -1, 0
	s_mul_i32 s6, s6, s8
	v_cndmask_b32_e64 v1, 0, 1, s[0:1]
	s_mov_b64 s[4:5], 0
	s_mul_i32 s7, s6, s23
	s_sub_i32 s8, 0, s9
	v_cmp_ne_u32_e64 s[0:1], 1, v1
	v_mov_b32_e32 v9, s41
	v_mov_b32_e32 v10, s43
	s_branch .LBB101_4
.LBB101_3:                              ;   in Loop: Header=BB101_4 Depth=1
	v_mul_hi_u32 v1, s18, v0
	v_add_u32_e32 v2, s7, v2
	v_add_u32_e32 v1, v0, v1
	v_lshrrev_b32_e32 v1, s19, v1
	v_mad_u64_u32 v[11:12], s[2:3], s8, v1, v[0:1]
	v_mul_lo_u32 v1, v11, s27
	v_add_co_u32_e32 v11, vcc, v1, v4
	v_addc_co_u32_e64 v12, s[2:3], 0, 0, vcc
	v_lshlrev_b64 v[11:12], 2, v[11:12]
	v_ashrrev_i32_e32 v1, 31, v0
	v_add_co_u32_e32 v13, vcc, s40, v11
	v_addc_co_u32_e32 v14, vcc, v9, v12, vcc
	v_add_co_u32_e32 v11, vcc, s42, v11
	global_load_dword v13, v[13:14], off
	v_addc_co_u32_e32 v12, vcc, v10, v12, vcc
	global_load_dword v14, v[11:12], off
	v_lshlrev_b64 v[11:12], 1, v[0:1]
	v_add_u32_e32 v0, s6, v0
	v_cmp_le_i32_e32 vcc, s12, v0
	v_add_co_u32_e64 v11, s[2:3], v7, v11
	v_addc_co_u32_e64 v12, s[2:3], v8, v12, s[2:3]
	s_or_b64 s[4:5], vcc, s[4:5]
	s_waitcnt vmcnt(1)
	v_mul_f32_e32 v1, v3, v13
	s_waitcnt vmcnt(0)
	v_fma_mixlo_f16 v1, v1, v14, 0
	global_store_short v[11:12], v1, off
	s_andn2_b64 exec, exec, s[4:5]
	s_cbranch_execz .LBB101_6
.LBB101_4:                              ; =>This Inner Loop Header: Depth=1
	s_and_b64 vcc, exec, s[0:1]
	v_mov_b32_e32 v3, 0
	s_cbranch_vccnz .LBB101_3
; %bb.5:                                ;   in Loop: Header=BB101_4 Depth=1
	v_ashrrev_i32_e32 v3, 31, v2
	v_lshlrev_b64 v[11:12], 1, v[2:3]
	v_add_co_u32_e32 v11, vcc, v5, v11
	v_addc_co_u32_e32 v12, vcc, v6, v12, vcc
	global_load_ushort v1, v[11:12], off
	s_waitcnt vmcnt(0)
	v_cvt_f32_f16_e32 v3, v1
	s_branch .LBB101_3
.LBB101_6:
	s_endpgm
	.section	.rodata,"a",@progbits
	.p2align	6, 0x0
	.amdhsa_kernel _ZL11k_bin_bcastIXadL_ZL6op_mulffEE6__halffS0_JPKfS2_EEvPKT0_PKT1_PT2_iii15HIP_vector_typeIjLj3EESC_SC_SC_SC_iiiiiiiiiiiDpT3_
		.amdhsa_group_segment_fixed_size 0
		.amdhsa_private_segment_fixed_size 0
		.amdhsa_kernarg_size 416
		.amdhsa_user_sgpr_count 6
		.amdhsa_user_sgpr_private_segment_buffer 1
		.amdhsa_user_sgpr_dispatch_ptr 0
		.amdhsa_user_sgpr_queue_ptr 0
		.amdhsa_user_sgpr_kernarg_segment_ptr 1
		.amdhsa_user_sgpr_dispatch_id 0
		.amdhsa_user_sgpr_flat_scratch_init 0
		.amdhsa_user_sgpr_private_segment_size 0
		.amdhsa_uses_dynamic_stack 0
		.amdhsa_system_sgpr_private_segment_wavefront_offset 0
		.amdhsa_system_sgpr_workgroup_id_x 1
		.amdhsa_system_sgpr_workgroup_id_y 1
		.amdhsa_system_sgpr_workgroup_id_z 1
		.amdhsa_system_sgpr_workgroup_info 0
		.amdhsa_system_vgpr_workitem_id 2
		.amdhsa_next_free_vgpr 15
		.amdhsa_next_free_sgpr 52
		.amdhsa_reserve_vcc 1
		.amdhsa_reserve_flat_scratch 0
		.amdhsa_float_round_mode_32 0
		.amdhsa_float_round_mode_16_64 0
		.amdhsa_float_denorm_mode_32 3
		.amdhsa_float_denorm_mode_16_64 3
		.amdhsa_dx10_clamp 1
		.amdhsa_ieee_mode 1
		.amdhsa_fp16_overflow 0
		.amdhsa_exception_fp_ieee_invalid_op 0
		.amdhsa_exception_fp_denorm_src 0
		.amdhsa_exception_fp_ieee_div_zero 0
		.amdhsa_exception_fp_ieee_overflow 0
		.amdhsa_exception_fp_ieee_underflow 0
		.amdhsa_exception_fp_ieee_inexact 0
		.amdhsa_exception_int_div_zero 0
	.end_amdhsa_kernel
	.section	.text._ZL11k_bin_bcastIXadL_ZL6op_mulffEE6__halffS0_JPKfS2_EEvPKT0_PKT1_PT2_iii15HIP_vector_typeIjLj3EESC_SC_SC_SC_iiiiiiiiiiiDpT3_,"axG",@progbits,_ZL11k_bin_bcastIXadL_ZL6op_mulffEE6__halffS0_JPKfS2_EEvPKT0_PKT1_PT2_iii15HIP_vector_typeIjLj3EESC_SC_SC_SC_iiiiiiiiiiiDpT3_,comdat
.Lfunc_end101:
	.size	_ZL11k_bin_bcastIXadL_ZL6op_mulffEE6__halffS0_JPKfS2_EEvPKT0_PKT1_PT2_iii15HIP_vector_typeIjLj3EESC_SC_SC_SC_iiiiiiiiiiiDpT3_, .Lfunc_end101-_ZL11k_bin_bcastIXadL_ZL6op_mulffEE6__halffS0_JPKfS2_EEvPKT0_PKT1_PT2_iii15HIP_vector_typeIjLj3EESC_SC_SC_SC_iiiiiiiiiiiDpT3_
                                        ; -- End function
	.set _ZL11k_bin_bcastIXadL_ZL6op_mulffEE6__halffS0_JPKfS2_EEvPKT0_PKT1_PT2_iii15HIP_vector_typeIjLj3EESC_SC_SC_SC_iiiiiiiiiiiDpT3_.num_vgpr, 15
	.set _ZL11k_bin_bcastIXadL_ZL6op_mulffEE6__halffS0_JPKfS2_EEvPKT0_PKT1_PT2_iii15HIP_vector_typeIjLj3EESC_SC_SC_SC_iiiiiiiiiiiDpT3_.num_agpr, 0
	.set _ZL11k_bin_bcastIXadL_ZL6op_mulffEE6__halffS0_JPKfS2_EEvPKT0_PKT1_PT2_iii15HIP_vector_typeIjLj3EESC_SC_SC_SC_iiiiiiiiiiiDpT3_.numbered_sgpr, 52
	.set _ZL11k_bin_bcastIXadL_ZL6op_mulffEE6__halffS0_JPKfS2_EEvPKT0_PKT1_PT2_iii15HIP_vector_typeIjLj3EESC_SC_SC_SC_iiiiiiiiiiiDpT3_.num_named_barrier, 0
	.set _ZL11k_bin_bcastIXadL_ZL6op_mulffEE6__halffS0_JPKfS2_EEvPKT0_PKT1_PT2_iii15HIP_vector_typeIjLj3EESC_SC_SC_SC_iiiiiiiiiiiDpT3_.private_seg_size, 0
	.set _ZL11k_bin_bcastIXadL_ZL6op_mulffEE6__halffS0_JPKfS2_EEvPKT0_PKT1_PT2_iii15HIP_vector_typeIjLj3EESC_SC_SC_SC_iiiiiiiiiiiDpT3_.uses_vcc, 1
	.set _ZL11k_bin_bcastIXadL_ZL6op_mulffEE6__halffS0_JPKfS2_EEvPKT0_PKT1_PT2_iii15HIP_vector_typeIjLj3EESC_SC_SC_SC_iiiiiiiiiiiDpT3_.uses_flat_scratch, 0
	.set _ZL11k_bin_bcastIXadL_ZL6op_mulffEE6__halffS0_JPKfS2_EEvPKT0_PKT1_PT2_iii15HIP_vector_typeIjLj3EESC_SC_SC_SC_iiiiiiiiiiiDpT3_.has_dyn_sized_stack, 0
	.set _ZL11k_bin_bcastIXadL_ZL6op_mulffEE6__halffS0_JPKfS2_EEvPKT0_PKT1_PT2_iii15HIP_vector_typeIjLj3EESC_SC_SC_SC_iiiiiiiiiiiDpT3_.has_recursion, 0
	.set _ZL11k_bin_bcastIXadL_ZL6op_mulffEE6__halffS0_JPKfS2_EEvPKT0_PKT1_PT2_iii15HIP_vector_typeIjLj3EESC_SC_SC_SC_iiiiiiiiiiiDpT3_.has_indirect_call, 0
	.section	.AMDGPU.csdata,"",@progbits
; Kernel info:
; codeLenInByte = 736
; TotalNumSgprs: 56
; NumVgprs: 15
; ScratchSize: 0
; MemoryBound: 0
; FloatMode: 240
; IeeeMode: 1
; LDSByteSize: 0 bytes/workgroup (compile time only)
; SGPRBlocks: 6
; VGPRBlocks: 3
; NumSGPRsForWavesPerEU: 56
; NumVGPRsForWavesPerEU: 15
; Occupancy: 10
; WaveLimiterHint : 1
; COMPUTE_PGM_RSRC2:SCRATCH_EN: 0
; COMPUTE_PGM_RSRC2:USER_SGPR: 6
; COMPUTE_PGM_RSRC2:TRAP_HANDLER: 0
; COMPUTE_PGM_RSRC2:TGID_X_EN: 1
; COMPUTE_PGM_RSRC2:TGID_Y_EN: 1
; COMPUTE_PGM_RSRC2:TGID_Z_EN: 1
; COMPUTE_PGM_RSRC2:TIDIG_COMP_CNT: 2
	.section	.text._ZL19k_bin_bcast_unravelIXadL_ZL6op_mulffEE6__halfffJPKfS2_EEvPKT0_PKT1_PT2_15HIP_vector_typeIjLj3EESC_SC_jSC_SC_SC_SC_SC_SC_iiiiiiiiiiiDpT3_,"axG",@progbits,_ZL19k_bin_bcast_unravelIXadL_ZL6op_mulffEE6__halfffJPKfS2_EEvPKT0_PKT1_PT2_15HIP_vector_typeIjLj3EESC_SC_jSC_SC_SC_SC_SC_SC_iiiiiiiiiiiDpT3_,comdat
	.globl	_ZL19k_bin_bcast_unravelIXadL_ZL6op_mulffEE6__halfffJPKfS2_EEvPKT0_PKT1_PT2_15HIP_vector_typeIjLj3EESC_SC_jSC_SC_SC_SC_SC_SC_iiiiiiiiiiiDpT3_ ; -- Begin function _ZL19k_bin_bcast_unravelIXadL_ZL6op_mulffEE6__halfffJPKfS2_EEvPKT0_PKT1_PT2_15HIP_vector_typeIjLj3EESC_SC_jSC_SC_SC_SC_SC_SC_iiiiiiiiiiiDpT3_
	.p2align	8
	.type	_ZL19k_bin_bcast_unravelIXadL_ZL6op_mulffEE6__halfffJPKfS2_EEvPKT0_PKT1_PT2_15HIP_vector_typeIjLj3EESC_SC_jSC_SC_SC_SC_SC_SC_iiiiiiiiiiiDpT3_,@function
_ZL19k_bin_bcast_unravelIXadL_ZL6op_mulffEE6__halfffJPKfS2_EEvPKT0_PKT1_PT2_15HIP_vector_typeIjLj3EESC_SC_jSC_SC_SC_SC_SC_SC_iiiiiiiiiiiDpT3_: ; @_ZL19k_bin_bcast_unravelIXadL_ZL6op_mulffEE6__halfffJPKfS2_EEvPKT0_PKT1_PT2_15HIP_vector_typeIjLj3EESC_SC_jSC_SC_SC_SC_SC_SC_iiiiiiiiiiiDpT3_
; %bb.0:
	s_load_dword s0, s[4:5], 0xd4
	s_load_dwordx8 s[8:15], s[4:5], 0x38
	s_waitcnt lgkmcnt(0)
	s_and_b32 s0, s0, 0xffff
	s_mul_i32 s6, s6, s0
	v_add_u32_e32 v0, s6, v0
	v_mul_hi_u32 v1, v0, s10
	s_load_dwordx4 s[0:3], s[4:5], 0x18
	s_waitcnt lgkmcnt(0)
	s_load_dword s3, s[4:5], 0x2c
	v_add_u32_e32 v1, v0, v1
	v_lshrrev_b32_e32 v1, s11, v1
	v_mul_lo_u32 v2, v1, s12
	v_sub_u32_e32 v0, v0, v2
	v_mul_hi_u32 v2, v0, s13
	v_add_u32_e32 v2, v0, v2
	v_lshrrev_b32_e32 v3, s14, v2
	v_mul_lo_u32 v2, v3, s15
	v_cmp_gt_u32_e32 vcc, s8, v3
	v_sub_u32_e32 v0, v0, v2
	v_mul_hi_u32 v2, v0, s0
	v_add_u32_e32 v2, v0, v2
	v_lshrrev_b32_e32 v4, s1, v2
	v_mul_lo_u32 v2, v4, s2
	s_waitcnt lgkmcnt(0)
	v_cmp_gt_u32_e64 s[0:1], s3, v4
	v_sub_u32_e32 v0, v0, v2
	v_cmp_gt_u32_e64 s[2:3], s2, v0
	s_and_b64 s[0:1], s[2:3], s[0:1]
	s_and_b64 s[0:1], s[0:1], vcc
	v_cmp_gt_u32_e32 vcc, s9, v1
	s_and_b64 s[0:1], vcc, s[0:1]
	s_and_saveexec_b64 s[2:3], s[0:1]
	s_cbranch_execz .LBB102_4
; %bb.1:
	s_load_dwordx2 s[6:7], s[4:5], 0x0
	s_load_dwordx4 s[0:3], s[4:5], 0xa8
	s_load_dwordx8 s[8:15], s[4:5], 0x88
	s_load_dwordx4 s[24:27], s[4:5], 0x78
	s_load_dwordx8 s[16:23], s[4:5], 0x58
	v_mov_b32_e32 v2, 0
	s_waitcnt lgkmcnt(0)
	s_cmp_eq_u64 s[6:7], 0
	v_mov_b32_e32 v5, 0
	s_cbranch_scc1 .LBB102_3
; %bb.2:
	v_mul_lo_u32 v5, v1, s14
	v_mul_lo_u32 v7, v3, s13
	;; [unrolled: 1-line block ×3, first 2 shown]
	v_mov_b32_e32 v6, 0
	v_mov_b32_e32 v9, s7
	v_add3_u32 v5, v7, v5, v8
	v_lshlrev_b64 v[7:8], 1, v[5:6]
	v_mul_lo_u32 v5, v0, s11
	v_add_co_u32_e32 v7, vcc, s6, v7
	v_addc_co_u32_e32 v8, vcc, v9, v8, vcc
	v_lshlrev_b64 v[5:6], 1, v[5:6]
	v_add_co_u32_e32 v5, vcc, v7, v5
	v_addc_co_u32_e32 v6, vcc, v8, v6, vcc
	global_load_ushort v5, v[5:6], off
	s_waitcnt vmcnt(0)
	v_cvt_f32_f16_e32 v5, v5
.LBB102_3:
	v_mul_hi_u32 v6, s19, v4
	v_mul_hi_u32 v7, s22, v3
	;; [unrolled: 1-line block ×4, first 2 shown]
	v_add_u32_e32 v6, v4, v6
	v_add_u32_e32 v7, v3, v7
	;; [unrolled: 1-line block ×3, first 2 shown]
	v_lshrrev_b32_e32 v6, s20, v6
	v_lshrrev_b32_e32 v7, s23, v7
	;; [unrolled: 1-line block ×3, first 2 shown]
	v_add_u32_e32 v9, v0, v9
	v_mul_lo_u32 v6, v6, s21
	v_mul_lo_u32 v7, v7, s24
	;; [unrolled: 1-line block ×3, first 2 shown]
	v_lshrrev_b32_e32 v9, s17, v9
	v_mul_lo_u32 v9, v9, s18
	v_sub_u32_e32 v6, v4, v6
	v_sub_u32_e32 v7, v3, v7
	;; [unrolled: 1-line block ×3, first 2 shown]
	v_mul_lo_u32 v8, v8, s2
	v_mul_lo_u32 v7, v7, s1
	;; [unrolled: 1-line block ×3, first 2 shown]
	v_sub_u32_e32 v9, v0, v9
	v_mul_lo_u32 v9, v9, s15
	s_load_dwordx4 s[0:3], s[4:5], 0xb8
	v_add3_u32 v6, v7, v8, v6
	v_ashrrev_i32_e32 v7, 31, v6
	v_ashrrev_i32_e32 v8, 31, v9
	v_add_co_u32_e32 v6, vcc, v9, v6
	v_addc_co_u32_e32 v7, vcc, v8, v7, vcc
	v_lshlrev_b64 v[6:7], 2, v[6:7]
	s_waitcnt lgkmcnt(0)
	v_mov_b32_e32 v9, s1
	v_add_co_u32_e32 v8, vcc, s0, v6
	v_addc_co_u32_e32 v9, vcc, v9, v7, vcc
	global_load_dword v8, v[8:9], off
	v_mov_b32_e32 v9, s3
	v_add_co_u32_e32 v6, vcc, s2, v6
	v_addc_co_u32_e32 v7, vcc, v9, v7, vcc
	global_load_dword v6, v[6:7], off
	v_mul_lo_u32 v7, v1, s10
	v_mul_lo_u32 v9, v3, s9
	;; [unrolled: 1-line block ×3, first 2 shown]
	s_load_dwordx2 s[0:1], s[4:5], 0x10
	v_mov_b32_e32 v1, v2
	v_lshlrev_b64 v[3:4], 2, v[0:1]
	v_add3_u32 v1, v9, v7, v10
	v_lshlrev_b64 v[0:1], 2, v[1:2]
	s_waitcnt lgkmcnt(0)
	v_mov_b32_e32 v2, s1
	v_add_co_u32_e32 v0, vcc, s0, v0
	v_addc_co_u32_e32 v1, vcc, v2, v1, vcc
	v_add_co_u32_e32 v0, vcc, v0, v3
	v_addc_co_u32_e32 v1, vcc, v1, v4, vcc
	s_waitcnt vmcnt(1)
	v_mul_f32_e32 v2, v5, v8
	s_waitcnt vmcnt(0)
	v_mul_f32_e32 v2, v2, v6
	global_store_dword v[0:1], v2, off
.LBB102_4:
	s_endpgm
	.section	.rodata,"a",@progbits
	.p2align	6, 0x0
	.amdhsa_kernel _ZL19k_bin_bcast_unravelIXadL_ZL6op_mulffEE6__halfffJPKfS2_EEvPKT0_PKT1_PT2_15HIP_vector_typeIjLj3EESC_SC_jSC_SC_SC_SC_SC_SC_iiiiiiiiiiiDpT3_
		.amdhsa_group_segment_fixed_size 0
		.amdhsa_private_segment_fixed_size 0
		.amdhsa_kernarg_size 456
		.amdhsa_user_sgpr_count 6
		.amdhsa_user_sgpr_private_segment_buffer 1
		.amdhsa_user_sgpr_dispatch_ptr 0
		.amdhsa_user_sgpr_queue_ptr 0
		.amdhsa_user_sgpr_kernarg_segment_ptr 1
		.amdhsa_user_sgpr_dispatch_id 0
		.amdhsa_user_sgpr_flat_scratch_init 0
		.amdhsa_user_sgpr_private_segment_size 0
		.amdhsa_uses_dynamic_stack 0
		.amdhsa_system_sgpr_private_segment_wavefront_offset 0
		.amdhsa_system_sgpr_workgroup_id_x 1
		.amdhsa_system_sgpr_workgroup_id_y 0
		.amdhsa_system_sgpr_workgroup_id_z 0
		.amdhsa_system_sgpr_workgroup_info 0
		.amdhsa_system_vgpr_workitem_id 0
		.amdhsa_next_free_vgpr 11
		.amdhsa_next_free_sgpr 28
		.amdhsa_reserve_vcc 1
		.amdhsa_reserve_flat_scratch 0
		.amdhsa_float_round_mode_32 0
		.amdhsa_float_round_mode_16_64 0
		.amdhsa_float_denorm_mode_32 3
		.amdhsa_float_denorm_mode_16_64 3
		.amdhsa_dx10_clamp 1
		.amdhsa_ieee_mode 1
		.amdhsa_fp16_overflow 0
		.amdhsa_exception_fp_ieee_invalid_op 0
		.amdhsa_exception_fp_denorm_src 0
		.amdhsa_exception_fp_ieee_div_zero 0
		.amdhsa_exception_fp_ieee_overflow 0
		.amdhsa_exception_fp_ieee_underflow 0
		.amdhsa_exception_fp_ieee_inexact 0
		.amdhsa_exception_int_div_zero 0
	.end_amdhsa_kernel
	.section	.text._ZL19k_bin_bcast_unravelIXadL_ZL6op_mulffEE6__halfffJPKfS2_EEvPKT0_PKT1_PT2_15HIP_vector_typeIjLj3EESC_SC_jSC_SC_SC_SC_SC_SC_iiiiiiiiiiiDpT3_,"axG",@progbits,_ZL19k_bin_bcast_unravelIXadL_ZL6op_mulffEE6__halfffJPKfS2_EEvPKT0_PKT1_PT2_15HIP_vector_typeIjLj3EESC_SC_jSC_SC_SC_SC_SC_SC_iiiiiiiiiiiDpT3_,comdat
.Lfunc_end102:
	.size	_ZL19k_bin_bcast_unravelIXadL_ZL6op_mulffEE6__halfffJPKfS2_EEvPKT0_PKT1_PT2_15HIP_vector_typeIjLj3EESC_SC_jSC_SC_SC_SC_SC_SC_iiiiiiiiiiiDpT3_, .Lfunc_end102-_ZL19k_bin_bcast_unravelIXadL_ZL6op_mulffEE6__halfffJPKfS2_EEvPKT0_PKT1_PT2_15HIP_vector_typeIjLj3EESC_SC_jSC_SC_SC_SC_SC_SC_iiiiiiiiiiiDpT3_
                                        ; -- End function
	.set _ZL19k_bin_bcast_unravelIXadL_ZL6op_mulffEE6__halfffJPKfS2_EEvPKT0_PKT1_PT2_15HIP_vector_typeIjLj3EESC_SC_jSC_SC_SC_SC_SC_SC_iiiiiiiiiiiDpT3_.num_vgpr, 11
	.set _ZL19k_bin_bcast_unravelIXadL_ZL6op_mulffEE6__halfffJPKfS2_EEvPKT0_PKT1_PT2_15HIP_vector_typeIjLj3EESC_SC_jSC_SC_SC_SC_SC_SC_iiiiiiiiiiiDpT3_.num_agpr, 0
	.set _ZL19k_bin_bcast_unravelIXadL_ZL6op_mulffEE6__halfffJPKfS2_EEvPKT0_PKT1_PT2_15HIP_vector_typeIjLj3EESC_SC_jSC_SC_SC_SC_SC_SC_iiiiiiiiiiiDpT3_.numbered_sgpr, 28
	.set _ZL19k_bin_bcast_unravelIXadL_ZL6op_mulffEE6__halfffJPKfS2_EEvPKT0_PKT1_PT2_15HIP_vector_typeIjLj3EESC_SC_jSC_SC_SC_SC_SC_SC_iiiiiiiiiiiDpT3_.num_named_barrier, 0
	.set _ZL19k_bin_bcast_unravelIXadL_ZL6op_mulffEE6__halfffJPKfS2_EEvPKT0_PKT1_PT2_15HIP_vector_typeIjLj3EESC_SC_jSC_SC_SC_SC_SC_SC_iiiiiiiiiiiDpT3_.private_seg_size, 0
	.set _ZL19k_bin_bcast_unravelIXadL_ZL6op_mulffEE6__halfffJPKfS2_EEvPKT0_PKT1_PT2_15HIP_vector_typeIjLj3EESC_SC_jSC_SC_SC_SC_SC_SC_iiiiiiiiiiiDpT3_.uses_vcc, 1
	.set _ZL19k_bin_bcast_unravelIXadL_ZL6op_mulffEE6__halfffJPKfS2_EEvPKT0_PKT1_PT2_15HIP_vector_typeIjLj3EESC_SC_jSC_SC_SC_SC_SC_SC_iiiiiiiiiiiDpT3_.uses_flat_scratch, 0
	.set _ZL19k_bin_bcast_unravelIXadL_ZL6op_mulffEE6__halfffJPKfS2_EEvPKT0_PKT1_PT2_15HIP_vector_typeIjLj3EESC_SC_jSC_SC_SC_SC_SC_SC_iiiiiiiiiiiDpT3_.has_dyn_sized_stack, 0
	.set _ZL19k_bin_bcast_unravelIXadL_ZL6op_mulffEE6__halfffJPKfS2_EEvPKT0_PKT1_PT2_15HIP_vector_typeIjLj3EESC_SC_jSC_SC_SC_SC_SC_SC_iiiiiiiiiiiDpT3_.has_recursion, 0
	.set _ZL19k_bin_bcast_unravelIXadL_ZL6op_mulffEE6__halfffJPKfS2_EEvPKT0_PKT1_PT2_15HIP_vector_typeIjLj3EESC_SC_jSC_SC_SC_SC_SC_SC_iiiiiiiiiiiDpT3_.has_indirect_call, 0
	.section	.AMDGPU.csdata,"",@progbits
; Kernel info:
; codeLenInByte = 684
; TotalNumSgprs: 32
; NumVgprs: 11
; ScratchSize: 0
; MemoryBound: 0
; FloatMode: 240
; IeeeMode: 1
; LDSByteSize: 0 bytes/workgroup (compile time only)
; SGPRBlocks: 3
; VGPRBlocks: 2
; NumSGPRsForWavesPerEU: 32
; NumVGPRsForWavesPerEU: 11
; Occupancy: 10
; WaveLimiterHint : 1
; COMPUTE_PGM_RSRC2:SCRATCH_EN: 0
; COMPUTE_PGM_RSRC2:USER_SGPR: 6
; COMPUTE_PGM_RSRC2:TRAP_HANDLER: 0
; COMPUTE_PGM_RSRC2:TGID_X_EN: 1
; COMPUTE_PGM_RSRC2:TGID_Y_EN: 0
; COMPUTE_PGM_RSRC2:TGID_Z_EN: 0
; COMPUTE_PGM_RSRC2:TIDIG_COMP_CNT: 0
	.section	.text._ZL11k_bin_bcastIXadL_ZL6op_mulffEE6__halfffJPKfS2_EEvPKT0_PKT1_PT2_iii15HIP_vector_typeIjLj3EESC_SC_SC_SC_iiiiiiiiiiiDpT3_,"axG",@progbits,_ZL11k_bin_bcastIXadL_ZL6op_mulffEE6__halfffJPKfS2_EEvPKT0_PKT1_PT2_iii15HIP_vector_typeIjLj3EESC_SC_SC_SC_iiiiiiiiiiiDpT3_,comdat
	.globl	_ZL11k_bin_bcastIXadL_ZL6op_mulffEE6__halfffJPKfS2_EEvPKT0_PKT1_PT2_iii15HIP_vector_typeIjLj3EESC_SC_SC_SC_iiiiiiiiiiiDpT3_ ; -- Begin function _ZL11k_bin_bcastIXadL_ZL6op_mulffEE6__halfffJPKfS2_EEvPKT0_PKT1_PT2_iii15HIP_vector_typeIjLj3EESC_SC_SC_SC_iiiiiiiiiiiDpT3_
	.p2align	8
	.type	_ZL11k_bin_bcastIXadL_ZL6op_mulffEE6__halfffJPKfS2_EEvPKT0_PKT1_PT2_iii15HIP_vector_typeIjLj3EESC_SC_SC_SC_iiiiiiiiiiiDpT3_,@function
_ZL11k_bin_bcastIXadL_ZL6op_mulffEE6__halfffJPKfS2_EEvPKT0_PKT1_PT2_iii15HIP_vector_typeIjLj3EESC_SC_SC_SC_iiiiiiiiiiiDpT3_: ; @_ZL11k_bin_bcastIXadL_ZL6op_mulffEE6__halfffJPKfS2_EEvPKT0_PKT1_PT2_iii15HIP_vector_typeIjLj3EESC_SC_SC_SC_iiiiiiiiiiiDpT3_
; %bb.0:
	s_load_dwordx2 s[0:1], s[4:5], 0xac
	s_load_dwordx8 s[12:19], s[4:5], 0x18
	s_add_u32 s2, s4, 0xa0
	s_addc_u32 s3, s5, 0
	s_waitcnt lgkmcnt(0)
	s_and_b32 s1, s1, 0xffff
	s_mul_i32 s8, s8, s1
	v_add_u32_e32 v3, s8, v2
	v_mul_hi_u32 v2, v3, s15
	s_lshr_b32 s1, s0, 16
	s_and_b32 s8, s0, 0xffff
	s_mul_i32 s6, s6, s8
	v_add_u32_e32 v2, v3, v2
	v_lshrrev_b32_e32 v2, s16, v2
	v_mul_lo_u32 v4, v2, s17
	s_mul_i32 s7, s7, s1
	v_add_u32_e32 v0, s6, v0
	v_add_u32_e32 v1, s7, v1
	v_cmp_gt_u32_e32 vcc, s12, v0
	v_cmp_gt_u32_e64 s[0:1], s13, v1
	v_sub_u32_e32 v3, v3, v4
	s_and_b64 s[0:1], vcc, s[0:1]
	v_cmp_gt_u32_e32 vcc, s14, v2
	s_and_b64 s[0:1], s[0:1], vcc
	v_cmp_gt_u32_e32 vcc, s17, v3
	s_and_b64 s[0:1], s[0:1], vcc
	s_and_saveexec_b64 s[6:7], s[0:1]
	s_cbranch_execz .LBB103_6
; %bb.1:
	v_cmp_gt_i32_e32 vcc, s12, v0
	s_and_b64 exec, exec, vcc
	s_cbranch_execz .LBB103_6
; %bb.2:
	s_load_dwordx8 s[44:51], s[4:5], 0x3c
	s_load_dwordx8 s[20:27], s[4:5], 0x60
	;; [unrolled: 1-line block ×3, first 2 shown]
	s_load_dword s6, s[2:3], 0x0
	s_load_dword s0, s[4:5], 0x5c
	s_waitcnt lgkmcnt(0)
	v_mul_hi_u32 v4, s44, v1
	v_mul_hi_u32 v5, s47, v2
	;; [unrolled: 1-line block ×3, first 2 shown]
	v_mul_lo_u32 v7, v3, s26
	v_add_u32_e32 v4, v1, v4
	v_add_u32_e32 v5, v2, v5
	;; [unrolled: 1-line block ×3, first 2 shown]
	v_lshrrev_b32_e32 v4, s45, v4
	v_lshrrev_b32_e32 v5, s48, v5
	;; [unrolled: 1-line block ×3, first 2 shown]
	v_mul_lo_u32 v4, v4, s46
	v_mul_lo_u32 v5, v5, s49
	;; [unrolled: 1-line block ×5, first 2 shown]
	v_sub_u32_e32 v4, v1, v4
	v_sub_u32_e32 v5, v2, v5
	;; [unrolled: 1-line block ×3, first 2 shown]
	s_load_dword s9, s[4:5], 0x38
	s_load_dwordx2 s[0:1], s[4:5], 0x0
	s_load_dwordx2 s[2:3], s[4:5], 0x10
	v_mul_lo_u32 v6, v6, s38
	v_mul_lo_u32 v5, v5, s37
	;; [unrolled: 1-line block ×6, first 2 shown]
	v_add3_u32 v1, v8, v9, v7
	v_mov_b32_e32 v2, 0
	v_mov_b32_e32 v8, v2
	v_lshlrev_b64 v[1:2], 1, v[1:2]
	v_add3_u32 v4, v5, v6, v4
	v_add3_u32 v7, v10, v11, v3
	s_waitcnt lgkmcnt(0)
	v_mov_b32_e32 v3, s1
	v_add_co_u32_e32 v5, vcc, s0, v1
	v_addc_co_u32_e32 v6, vcc, v3, v2, vcc
	v_lshlrev_b64 v[1:2], 2, v[7:8]
	v_mov_b32_e32 v3, s3
	v_add_co_u32_e32 v7, vcc, s2, v1
	v_addc_co_u32_e32 v8, vcc, v3, v2, vcc
	s_cmp_lg_u64 s[0:1], 0
	v_mul_lo_u32 v2, s23, v0
	s_cselect_b64 s[0:1], -1, 0
	s_mul_i32 s6, s6, s8
	v_cndmask_b32_e64 v1, 0, 1, s[0:1]
	s_mov_b64 s[4:5], 0
	s_mul_i32 s7, s6, s23
	s_sub_i32 s8, 0, s9
	v_cmp_ne_u32_e64 s[0:1], 1, v1
	v_mov_b32_e32 v9, s41
	v_mov_b32_e32 v10, s43
	s_branch .LBB103_4
.LBB103_3:                              ;   in Loop: Header=BB103_4 Depth=1
	v_mul_hi_u32 v1, s18, v0
	v_add_u32_e32 v2, s7, v2
	v_add_u32_e32 v1, v0, v1
	v_lshrrev_b32_e32 v1, s19, v1
	v_mad_u64_u32 v[11:12], s[2:3], s8, v1, v[0:1]
	v_mul_lo_u32 v1, v11, s27
	v_add_co_u32_e32 v11, vcc, v1, v4
	v_addc_co_u32_e64 v12, s[2:3], 0, 0, vcc
	v_lshlrev_b64 v[11:12], 2, v[11:12]
	v_ashrrev_i32_e32 v1, 31, v0
	v_add_co_u32_e32 v13, vcc, s40, v11
	v_addc_co_u32_e32 v14, vcc, v9, v12, vcc
	v_add_co_u32_e32 v11, vcc, s42, v11
	global_load_dword v13, v[13:14], off
	v_addc_co_u32_e32 v12, vcc, v10, v12, vcc
	global_load_dword v14, v[11:12], off
	v_lshlrev_b64 v[11:12], 2, v[0:1]
	v_add_u32_e32 v0, s6, v0
	v_cmp_le_i32_e32 vcc, s12, v0
	v_add_co_u32_e64 v11, s[2:3], v7, v11
	v_addc_co_u32_e64 v12, s[2:3], v8, v12, s[2:3]
	s_or_b64 s[4:5], vcc, s[4:5]
	s_waitcnt vmcnt(1)
	v_mul_f32_e32 v1, v3, v13
	s_waitcnt vmcnt(0)
	v_mul_f32_e32 v1, v1, v14
	global_store_dword v[11:12], v1, off
	s_andn2_b64 exec, exec, s[4:5]
	s_cbranch_execz .LBB103_6
.LBB103_4:                              ; =>This Inner Loop Header: Depth=1
	s_and_b64 vcc, exec, s[0:1]
	v_mov_b32_e32 v3, 0
	s_cbranch_vccnz .LBB103_3
; %bb.5:                                ;   in Loop: Header=BB103_4 Depth=1
	v_ashrrev_i32_e32 v3, 31, v2
	v_lshlrev_b64 v[11:12], 1, v[2:3]
	v_add_co_u32_e32 v11, vcc, v5, v11
	v_addc_co_u32_e32 v12, vcc, v6, v12, vcc
	global_load_ushort v1, v[11:12], off
	s_waitcnt vmcnt(0)
	v_cvt_f32_f16_e32 v3, v1
	s_branch .LBB103_3
.LBB103_6:
	s_endpgm
	.section	.rodata,"a",@progbits
	.p2align	6, 0x0
	.amdhsa_kernel _ZL11k_bin_bcastIXadL_ZL6op_mulffEE6__halfffJPKfS2_EEvPKT0_PKT1_PT2_iii15HIP_vector_typeIjLj3EESC_SC_SC_SC_iiiiiiiiiiiDpT3_
		.amdhsa_group_segment_fixed_size 0
		.amdhsa_private_segment_fixed_size 0
		.amdhsa_kernarg_size 416
		.amdhsa_user_sgpr_count 6
		.amdhsa_user_sgpr_private_segment_buffer 1
		.amdhsa_user_sgpr_dispatch_ptr 0
		.amdhsa_user_sgpr_queue_ptr 0
		.amdhsa_user_sgpr_kernarg_segment_ptr 1
		.amdhsa_user_sgpr_dispatch_id 0
		.amdhsa_user_sgpr_flat_scratch_init 0
		.amdhsa_user_sgpr_private_segment_size 0
		.amdhsa_uses_dynamic_stack 0
		.amdhsa_system_sgpr_private_segment_wavefront_offset 0
		.amdhsa_system_sgpr_workgroup_id_x 1
		.amdhsa_system_sgpr_workgroup_id_y 1
		.amdhsa_system_sgpr_workgroup_id_z 1
		.amdhsa_system_sgpr_workgroup_info 0
		.amdhsa_system_vgpr_workitem_id 2
		.amdhsa_next_free_vgpr 15
		.amdhsa_next_free_sgpr 52
		.amdhsa_reserve_vcc 1
		.amdhsa_reserve_flat_scratch 0
		.amdhsa_float_round_mode_32 0
		.amdhsa_float_round_mode_16_64 0
		.amdhsa_float_denorm_mode_32 3
		.amdhsa_float_denorm_mode_16_64 3
		.amdhsa_dx10_clamp 1
		.amdhsa_ieee_mode 1
		.amdhsa_fp16_overflow 0
		.amdhsa_exception_fp_ieee_invalid_op 0
		.amdhsa_exception_fp_denorm_src 0
		.amdhsa_exception_fp_ieee_div_zero 0
		.amdhsa_exception_fp_ieee_overflow 0
		.amdhsa_exception_fp_ieee_underflow 0
		.amdhsa_exception_fp_ieee_inexact 0
		.amdhsa_exception_int_div_zero 0
	.end_amdhsa_kernel
	.section	.text._ZL11k_bin_bcastIXadL_ZL6op_mulffEE6__halfffJPKfS2_EEvPKT0_PKT1_PT2_iii15HIP_vector_typeIjLj3EESC_SC_SC_SC_iiiiiiiiiiiDpT3_,"axG",@progbits,_ZL11k_bin_bcastIXadL_ZL6op_mulffEE6__halfffJPKfS2_EEvPKT0_PKT1_PT2_iii15HIP_vector_typeIjLj3EESC_SC_SC_SC_iiiiiiiiiiiDpT3_,comdat
.Lfunc_end103:
	.size	_ZL11k_bin_bcastIXadL_ZL6op_mulffEE6__halfffJPKfS2_EEvPKT0_PKT1_PT2_iii15HIP_vector_typeIjLj3EESC_SC_SC_SC_iiiiiiiiiiiDpT3_, .Lfunc_end103-_ZL11k_bin_bcastIXadL_ZL6op_mulffEE6__halfffJPKfS2_EEvPKT0_PKT1_PT2_iii15HIP_vector_typeIjLj3EESC_SC_SC_SC_iiiiiiiiiiiDpT3_
                                        ; -- End function
	.set _ZL11k_bin_bcastIXadL_ZL6op_mulffEE6__halfffJPKfS2_EEvPKT0_PKT1_PT2_iii15HIP_vector_typeIjLj3EESC_SC_SC_SC_iiiiiiiiiiiDpT3_.num_vgpr, 15
	.set _ZL11k_bin_bcastIXadL_ZL6op_mulffEE6__halfffJPKfS2_EEvPKT0_PKT1_PT2_iii15HIP_vector_typeIjLj3EESC_SC_SC_SC_iiiiiiiiiiiDpT3_.num_agpr, 0
	.set _ZL11k_bin_bcastIXadL_ZL6op_mulffEE6__halfffJPKfS2_EEvPKT0_PKT1_PT2_iii15HIP_vector_typeIjLj3EESC_SC_SC_SC_iiiiiiiiiiiDpT3_.numbered_sgpr, 52
	.set _ZL11k_bin_bcastIXadL_ZL6op_mulffEE6__halfffJPKfS2_EEvPKT0_PKT1_PT2_iii15HIP_vector_typeIjLj3EESC_SC_SC_SC_iiiiiiiiiiiDpT3_.num_named_barrier, 0
	.set _ZL11k_bin_bcastIXadL_ZL6op_mulffEE6__halfffJPKfS2_EEvPKT0_PKT1_PT2_iii15HIP_vector_typeIjLj3EESC_SC_SC_SC_iiiiiiiiiiiDpT3_.private_seg_size, 0
	.set _ZL11k_bin_bcastIXadL_ZL6op_mulffEE6__halfffJPKfS2_EEvPKT0_PKT1_PT2_iii15HIP_vector_typeIjLj3EESC_SC_SC_SC_iiiiiiiiiiiDpT3_.uses_vcc, 1
	.set _ZL11k_bin_bcastIXadL_ZL6op_mulffEE6__halfffJPKfS2_EEvPKT0_PKT1_PT2_iii15HIP_vector_typeIjLj3EESC_SC_SC_SC_iiiiiiiiiiiDpT3_.uses_flat_scratch, 0
	.set _ZL11k_bin_bcastIXadL_ZL6op_mulffEE6__halfffJPKfS2_EEvPKT0_PKT1_PT2_iii15HIP_vector_typeIjLj3EESC_SC_SC_SC_iiiiiiiiiiiDpT3_.has_dyn_sized_stack, 0
	.set _ZL11k_bin_bcastIXadL_ZL6op_mulffEE6__halfffJPKfS2_EEvPKT0_PKT1_PT2_iii15HIP_vector_typeIjLj3EESC_SC_SC_SC_iiiiiiiiiiiDpT3_.has_recursion, 0
	.set _ZL11k_bin_bcastIXadL_ZL6op_mulffEE6__halfffJPKfS2_EEvPKT0_PKT1_PT2_iii15HIP_vector_typeIjLj3EESC_SC_SC_SC_iiiiiiiiiiiDpT3_.has_indirect_call, 0
	.section	.AMDGPU.csdata,"",@progbits
; Kernel info:
; codeLenInByte = 732
; TotalNumSgprs: 56
; NumVgprs: 15
; ScratchSize: 0
; MemoryBound: 0
; FloatMode: 240
; IeeeMode: 1
; LDSByteSize: 0 bytes/workgroup (compile time only)
; SGPRBlocks: 6
; VGPRBlocks: 3
; NumSGPRsForWavesPerEU: 56
; NumVGPRsForWavesPerEU: 15
; Occupancy: 10
; WaveLimiterHint : 1
; COMPUTE_PGM_RSRC2:SCRATCH_EN: 0
; COMPUTE_PGM_RSRC2:USER_SGPR: 6
; COMPUTE_PGM_RSRC2:TRAP_HANDLER: 0
; COMPUTE_PGM_RSRC2:TGID_X_EN: 1
; COMPUTE_PGM_RSRC2:TGID_Y_EN: 1
; COMPUTE_PGM_RSRC2:TGID_Z_EN: 1
; COMPUTE_PGM_RSRC2:TIDIG_COMP_CNT: 2
	.section	.text._ZL19k_bin_bcast_unravelIXadL_ZL6op_mulffEEfffJPKfS1_S1_EEvPKT0_PKT1_PT2_15HIP_vector_typeIjLj3EESB_SB_jSB_SB_SB_SB_SB_SB_iiiiiiiiiiiDpT3_,"axG",@progbits,_ZL19k_bin_bcast_unravelIXadL_ZL6op_mulffEEfffJPKfS1_S1_EEvPKT0_PKT1_PT2_15HIP_vector_typeIjLj3EESB_SB_jSB_SB_SB_SB_SB_SB_iiiiiiiiiiiDpT3_,comdat
	.globl	_ZL19k_bin_bcast_unravelIXadL_ZL6op_mulffEEfffJPKfS1_S1_EEvPKT0_PKT1_PT2_15HIP_vector_typeIjLj3EESB_SB_jSB_SB_SB_SB_SB_SB_iiiiiiiiiiiDpT3_ ; -- Begin function _ZL19k_bin_bcast_unravelIXadL_ZL6op_mulffEEfffJPKfS1_S1_EEvPKT0_PKT1_PT2_15HIP_vector_typeIjLj3EESB_SB_jSB_SB_SB_SB_SB_SB_iiiiiiiiiiiDpT3_
	.p2align	8
	.type	_ZL19k_bin_bcast_unravelIXadL_ZL6op_mulffEEfffJPKfS1_S1_EEvPKT0_PKT1_PT2_15HIP_vector_typeIjLj3EESB_SB_jSB_SB_SB_SB_SB_SB_iiiiiiiiiiiDpT3_,@function
_ZL19k_bin_bcast_unravelIXadL_ZL6op_mulffEEfffJPKfS1_S1_EEvPKT0_PKT1_PT2_15HIP_vector_typeIjLj3EESB_SB_jSB_SB_SB_SB_SB_SB_iiiiiiiiiiiDpT3_: ; @_ZL19k_bin_bcast_unravelIXadL_ZL6op_mulffEEfffJPKfS1_S1_EEvPKT0_PKT1_PT2_15HIP_vector_typeIjLj3EESB_SB_jSB_SB_SB_SB_SB_SB_iiiiiiiiiiiDpT3_
; %bb.0:
	s_load_dword s0, s[4:5], 0xdc
	s_load_dwordx8 s[8:15], s[4:5], 0x38
	s_waitcnt lgkmcnt(0)
	s_and_b32 s0, s0, 0xffff
	s_mul_i32 s6, s6, s0
	v_add_u32_e32 v0, s6, v0
	v_mul_hi_u32 v1, v0, s10
	s_load_dwordx4 s[0:3], s[4:5], 0x18
	s_waitcnt lgkmcnt(0)
	s_load_dword s3, s[4:5], 0x2c
	v_add_u32_e32 v1, v0, v1
	v_lshrrev_b32_e32 v1, s11, v1
	v_mul_lo_u32 v2, v1, s12
	v_sub_u32_e32 v0, v0, v2
	v_mul_hi_u32 v2, v0, s13
	v_add_u32_e32 v2, v0, v2
	v_lshrrev_b32_e32 v3, s14, v2
	v_mul_lo_u32 v2, v3, s15
	v_cmp_gt_u32_e32 vcc, s8, v3
	v_sub_u32_e32 v0, v0, v2
	v_mul_hi_u32 v2, v0, s0
	v_add_u32_e32 v2, v0, v2
	v_lshrrev_b32_e32 v4, s1, v2
	v_mul_lo_u32 v2, v4, s2
	s_waitcnt lgkmcnt(0)
	v_cmp_gt_u32_e64 s[0:1], s3, v4
	v_sub_u32_e32 v0, v0, v2
	v_cmp_gt_u32_e64 s[2:3], s2, v0
	s_and_b64 s[0:1], s[2:3], s[0:1]
	s_and_b64 s[0:1], s[0:1], vcc
	v_cmp_gt_u32_e32 vcc, s9, v1
	s_and_b64 s[0:1], vcc, s[0:1]
	s_and_saveexec_b64 s[2:3], s[0:1]
	s_cbranch_execz .LBB104_4
; %bb.1:
	s_load_dwordx2 s[6:7], s[4:5], 0x0
	s_load_dwordx4 s[0:3], s[4:5], 0xa8
	s_load_dwordx8 s[8:15], s[4:5], 0x88
	s_load_dwordx4 s[24:27], s[4:5], 0x78
	s_load_dwordx8 s[16:23], s[4:5], 0x58
	v_mov_b32_e32 v2, 0
	s_waitcnt lgkmcnt(0)
	s_cmp_eq_u64 s[6:7], 0
	v_mov_b32_e32 v5, 0
	s_cbranch_scc1 .LBB104_3
; %bb.2:
	v_mul_lo_u32 v5, v1, s14
	v_mul_lo_u32 v7, v3, s13
	;; [unrolled: 1-line block ×3, first 2 shown]
	v_mov_b32_e32 v6, 0
	v_mov_b32_e32 v9, s7
	v_add3_u32 v5, v7, v5, v8
	v_lshlrev_b64 v[7:8], 2, v[5:6]
	v_mul_lo_u32 v5, v0, s11
	v_add_co_u32_e32 v7, vcc, s6, v7
	v_addc_co_u32_e32 v8, vcc, v9, v8, vcc
	v_lshlrev_b64 v[5:6], 2, v[5:6]
	v_add_co_u32_e32 v5, vcc, v7, v5
	v_addc_co_u32_e32 v6, vcc, v8, v6, vcc
	global_load_dword v5, v[5:6], off
.LBB104_3:
	v_mul_hi_u32 v6, s19, v4
	v_mul_hi_u32 v7, s22, v3
	;; [unrolled: 1-line block ×4, first 2 shown]
	v_add_u32_e32 v6, v4, v6
	v_add_u32_e32 v7, v3, v7
	;; [unrolled: 1-line block ×3, first 2 shown]
	v_lshrrev_b32_e32 v6, s20, v6
	v_lshrrev_b32_e32 v7, s23, v7
	v_lshrrev_b32_e32 v8, s26, v8
	v_mul_lo_u32 v6, v6, s21
	v_mul_lo_u32 v7, v7, s24
	;; [unrolled: 1-line block ×3, first 2 shown]
	v_add_u32_e32 v9, v0, v9
	v_sub_u32_e32 v6, v4, v6
	v_sub_u32_e32 v7, v3, v7
	;; [unrolled: 1-line block ×3, first 2 shown]
	v_lshrrev_b32_e32 v9, s17, v9
	v_mul_lo_u32 v8, v8, s2
	v_mul_lo_u32 v7, v7, s1
	v_mul_lo_u32 v6, v6, s0
	v_mul_lo_u32 v9, v9, s18
	s_load_dwordx2 s[6:7], s[4:5], 0xc8
	s_load_dwordx4 s[0:3], s[4:5], 0xb8
	v_mul_lo_u32 v11, v4, s8
	v_add3_u32 v6, v7, v8, v6
	v_sub_u32_e32 v7, v0, v9
	v_mul_lo_u32 v7, v7, s15
	v_ashrrev_i32_e32 v8, 31, v6
	v_ashrrev_i32_e32 v9, 31, v7
	v_add_co_u32_e32 v6, vcc, v7, v6
	v_addc_co_u32_e32 v7, vcc, v9, v8, vcc
	v_lshlrev_b64 v[6:7], 2, v[6:7]
	s_waitcnt lgkmcnt(0)
	v_mov_b32_e32 v9, s1
	v_add_co_u32_e32 v8, vcc, s0, v6
	v_addc_co_u32_e32 v9, vcc, v9, v7, vcc
	global_load_dword v10, v[8:9], off
	v_mov_b32_e32 v9, s3
	v_add_co_u32_e32 v8, vcc, s2, v6
	v_addc_co_u32_e32 v9, vcc, v9, v7, vcc
	global_load_dword v8, v[8:9], off
	;; [unrolled: 4-line block ×3, first 2 shown]
	v_mul_lo_u32 v7, v1, s10
	v_mul_lo_u32 v9, v3, s9
	s_load_dwordx2 s[0:1], s[4:5], 0x10
	v_mov_b32_e32 v1, v2
	v_lshlrev_b64 v[3:4], 2, v[0:1]
	v_add3_u32 v1, v9, v7, v11
	v_lshlrev_b64 v[0:1], 2, v[1:2]
	s_waitcnt lgkmcnt(0)
	v_mov_b32_e32 v2, s1
	v_add_co_u32_e32 v0, vcc, s0, v0
	v_addc_co_u32_e32 v1, vcc, v2, v1, vcc
	v_add_co_u32_e32 v0, vcc, v0, v3
	v_addc_co_u32_e32 v1, vcc, v1, v4, vcc
	s_waitcnt vmcnt(2)
	v_mul_f32_e32 v2, v5, v10
	s_waitcnt vmcnt(1)
	v_mul_f32_e32 v2, v2, v8
	;; [unrolled: 2-line block ×3, first 2 shown]
	global_store_dword v[0:1], v2, off
.LBB104_4:
	s_endpgm
	.section	.rodata,"a",@progbits
	.p2align	6, 0x0
	.amdhsa_kernel _ZL19k_bin_bcast_unravelIXadL_ZL6op_mulffEEfffJPKfS1_S1_EEvPKT0_PKT1_PT2_15HIP_vector_typeIjLj3EESB_SB_jSB_SB_SB_SB_SB_SB_iiiiiiiiiiiDpT3_
		.amdhsa_group_segment_fixed_size 0
		.amdhsa_private_segment_fixed_size 0
		.amdhsa_kernarg_size 464
		.amdhsa_user_sgpr_count 6
		.amdhsa_user_sgpr_private_segment_buffer 1
		.amdhsa_user_sgpr_dispatch_ptr 0
		.amdhsa_user_sgpr_queue_ptr 0
		.amdhsa_user_sgpr_kernarg_segment_ptr 1
		.amdhsa_user_sgpr_dispatch_id 0
		.amdhsa_user_sgpr_flat_scratch_init 0
		.amdhsa_user_sgpr_private_segment_size 0
		.amdhsa_uses_dynamic_stack 0
		.amdhsa_system_sgpr_private_segment_wavefront_offset 0
		.amdhsa_system_sgpr_workgroup_id_x 1
		.amdhsa_system_sgpr_workgroup_id_y 0
		.amdhsa_system_sgpr_workgroup_id_z 0
		.amdhsa_system_sgpr_workgroup_info 0
		.amdhsa_system_vgpr_workitem_id 0
		.amdhsa_next_free_vgpr 12
		.amdhsa_next_free_sgpr 28
		.amdhsa_reserve_vcc 1
		.amdhsa_reserve_flat_scratch 0
		.amdhsa_float_round_mode_32 0
		.amdhsa_float_round_mode_16_64 0
		.amdhsa_float_denorm_mode_32 3
		.amdhsa_float_denorm_mode_16_64 3
		.amdhsa_dx10_clamp 1
		.amdhsa_ieee_mode 1
		.amdhsa_fp16_overflow 0
		.amdhsa_exception_fp_ieee_invalid_op 0
		.amdhsa_exception_fp_denorm_src 0
		.amdhsa_exception_fp_ieee_div_zero 0
		.amdhsa_exception_fp_ieee_overflow 0
		.amdhsa_exception_fp_ieee_underflow 0
		.amdhsa_exception_fp_ieee_inexact 0
		.amdhsa_exception_int_div_zero 0
	.end_amdhsa_kernel
	.section	.text._ZL19k_bin_bcast_unravelIXadL_ZL6op_mulffEEfffJPKfS1_S1_EEvPKT0_PKT1_PT2_15HIP_vector_typeIjLj3EESB_SB_jSB_SB_SB_SB_SB_SB_iiiiiiiiiiiDpT3_,"axG",@progbits,_ZL19k_bin_bcast_unravelIXadL_ZL6op_mulffEEfffJPKfS1_S1_EEvPKT0_PKT1_PT2_15HIP_vector_typeIjLj3EESB_SB_jSB_SB_SB_SB_SB_SB_iiiiiiiiiiiDpT3_,comdat
.Lfunc_end104:
	.size	_ZL19k_bin_bcast_unravelIXadL_ZL6op_mulffEEfffJPKfS1_S1_EEvPKT0_PKT1_PT2_15HIP_vector_typeIjLj3EESB_SB_jSB_SB_SB_SB_SB_SB_iiiiiiiiiiiDpT3_, .Lfunc_end104-_ZL19k_bin_bcast_unravelIXadL_ZL6op_mulffEEfffJPKfS1_S1_EEvPKT0_PKT1_PT2_15HIP_vector_typeIjLj3EESB_SB_jSB_SB_SB_SB_SB_SB_iiiiiiiiiiiDpT3_
                                        ; -- End function
	.set _ZL19k_bin_bcast_unravelIXadL_ZL6op_mulffEEfffJPKfS1_S1_EEvPKT0_PKT1_PT2_15HIP_vector_typeIjLj3EESB_SB_jSB_SB_SB_SB_SB_SB_iiiiiiiiiiiDpT3_.num_vgpr, 12
	.set _ZL19k_bin_bcast_unravelIXadL_ZL6op_mulffEEfffJPKfS1_S1_EEvPKT0_PKT1_PT2_15HIP_vector_typeIjLj3EESB_SB_jSB_SB_SB_SB_SB_SB_iiiiiiiiiiiDpT3_.num_agpr, 0
	.set _ZL19k_bin_bcast_unravelIXadL_ZL6op_mulffEEfffJPKfS1_S1_EEvPKT0_PKT1_PT2_15HIP_vector_typeIjLj3EESB_SB_jSB_SB_SB_SB_SB_SB_iiiiiiiiiiiDpT3_.numbered_sgpr, 28
	.set _ZL19k_bin_bcast_unravelIXadL_ZL6op_mulffEEfffJPKfS1_S1_EEvPKT0_PKT1_PT2_15HIP_vector_typeIjLj3EESB_SB_jSB_SB_SB_SB_SB_SB_iiiiiiiiiiiDpT3_.num_named_barrier, 0
	.set _ZL19k_bin_bcast_unravelIXadL_ZL6op_mulffEEfffJPKfS1_S1_EEvPKT0_PKT1_PT2_15HIP_vector_typeIjLj3EESB_SB_jSB_SB_SB_SB_SB_SB_iiiiiiiiiiiDpT3_.private_seg_size, 0
	.set _ZL19k_bin_bcast_unravelIXadL_ZL6op_mulffEEfffJPKfS1_S1_EEvPKT0_PKT1_PT2_15HIP_vector_typeIjLj3EESB_SB_jSB_SB_SB_SB_SB_SB_iiiiiiiiiiiDpT3_.uses_vcc, 1
	.set _ZL19k_bin_bcast_unravelIXadL_ZL6op_mulffEEfffJPKfS1_S1_EEvPKT0_PKT1_PT2_15HIP_vector_typeIjLj3EESB_SB_jSB_SB_SB_SB_SB_SB_iiiiiiiiiiiDpT3_.uses_flat_scratch, 0
	.set _ZL19k_bin_bcast_unravelIXadL_ZL6op_mulffEEfffJPKfS1_S1_EEvPKT0_PKT1_PT2_15HIP_vector_typeIjLj3EESB_SB_jSB_SB_SB_SB_SB_SB_iiiiiiiiiiiDpT3_.has_dyn_sized_stack, 0
	.set _ZL19k_bin_bcast_unravelIXadL_ZL6op_mulffEEfffJPKfS1_S1_EEvPKT0_PKT1_PT2_15HIP_vector_typeIjLj3EESB_SB_jSB_SB_SB_SB_SB_SB_iiiiiiiiiiiDpT3_.has_recursion, 0
	.set _ZL19k_bin_bcast_unravelIXadL_ZL6op_mulffEEfffJPKfS1_S1_EEvPKT0_PKT1_PT2_15HIP_vector_typeIjLj3EESB_SB_jSB_SB_SB_SB_SB_SB_iiiiiiiiiiiDpT3_.has_indirect_call, 0
	.section	.AMDGPU.csdata,"",@progbits
; Kernel info:
; codeLenInByte = 712
; TotalNumSgprs: 32
; NumVgprs: 12
; ScratchSize: 0
; MemoryBound: 0
; FloatMode: 240
; IeeeMode: 1
; LDSByteSize: 0 bytes/workgroup (compile time only)
; SGPRBlocks: 3
; VGPRBlocks: 2
; NumSGPRsForWavesPerEU: 32
; NumVGPRsForWavesPerEU: 12
; Occupancy: 10
; WaveLimiterHint : 1
; COMPUTE_PGM_RSRC2:SCRATCH_EN: 0
; COMPUTE_PGM_RSRC2:USER_SGPR: 6
; COMPUTE_PGM_RSRC2:TRAP_HANDLER: 0
; COMPUTE_PGM_RSRC2:TGID_X_EN: 1
; COMPUTE_PGM_RSRC2:TGID_Y_EN: 0
; COMPUTE_PGM_RSRC2:TGID_Z_EN: 0
; COMPUTE_PGM_RSRC2:TIDIG_COMP_CNT: 0
	.section	.text._ZL11k_bin_bcastIXadL_ZL6op_mulffEEfffJPKfS1_S1_EEvPKT0_PKT1_PT2_iii15HIP_vector_typeIjLj3EESB_SB_SB_SB_iiiiiiiiiiiDpT3_,"axG",@progbits,_ZL11k_bin_bcastIXadL_ZL6op_mulffEEfffJPKfS1_S1_EEvPKT0_PKT1_PT2_iii15HIP_vector_typeIjLj3EESB_SB_SB_SB_iiiiiiiiiiiDpT3_,comdat
	.globl	_ZL11k_bin_bcastIXadL_ZL6op_mulffEEfffJPKfS1_S1_EEvPKT0_PKT1_PT2_iii15HIP_vector_typeIjLj3EESB_SB_SB_SB_iiiiiiiiiiiDpT3_ ; -- Begin function _ZL11k_bin_bcastIXadL_ZL6op_mulffEEfffJPKfS1_S1_EEvPKT0_PKT1_PT2_iii15HIP_vector_typeIjLj3EESB_SB_SB_SB_iiiiiiiiiiiDpT3_
	.p2align	8
	.type	_ZL11k_bin_bcastIXadL_ZL6op_mulffEEfffJPKfS1_S1_EEvPKT0_PKT1_PT2_iii15HIP_vector_typeIjLj3EESB_SB_SB_SB_iiiiiiiiiiiDpT3_,@function
_ZL11k_bin_bcastIXadL_ZL6op_mulffEEfffJPKfS1_S1_EEvPKT0_PKT1_PT2_iii15HIP_vector_typeIjLj3EESB_SB_SB_SB_iiiiiiiiiiiDpT3_: ; @_ZL11k_bin_bcastIXadL_ZL6op_mulffEEfffJPKfS1_S1_EEvPKT0_PKT1_PT2_iii15HIP_vector_typeIjLj3EESB_SB_SB_SB_iiiiiiiiiiiDpT3_
; %bb.0:
	s_load_dwordx2 s[0:1], s[4:5], 0xb4
	s_load_dwordx8 s[12:19], s[4:5], 0x18
	s_add_u32 s2, s4, 0xa8
	s_addc_u32 s3, s5, 0
	s_waitcnt lgkmcnt(0)
	s_and_b32 s1, s1, 0xffff
	s_mul_i32 s8, s8, s1
	v_add_u32_e32 v3, s8, v2
	v_mul_hi_u32 v2, v3, s15
	s_lshr_b32 s1, s0, 16
	s_and_b32 s8, s0, 0xffff
	s_mul_i32 s6, s6, s8
	v_add_u32_e32 v2, v3, v2
	v_lshrrev_b32_e32 v2, s16, v2
	v_mul_lo_u32 v4, v2, s17
	s_mul_i32 s7, s7, s1
	v_add_u32_e32 v0, s6, v0
	v_add_u32_e32 v1, s7, v1
	v_cmp_gt_u32_e32 vcc, s12, v0
	v_cmp_gt_u32_e64 s[0:1], s13, v1
	v_sub_u32_e32 v3, v3, v4
	s_and_b64 s[0:1], vcc, s[0:1]
	v_cmp_gt_u32_e32 vcc, s14, v2
	s_and_b64 s[0:1], s[0:1], vcc
	v_cmp_gt_u32_e32 vcc, s17, v3
	s_and_b64 s[0:1], s[0:1], vcc
	s_and_saveexec_b64 s[6:7], s[0:1]
	s_cbranch_execz .LBB105_6
; %bb.1:
	v_cmp_gt_i32_e32 vcc, s12, v0
	s_and_b64 exec, exec, vcc
	s_cbranch_execz .LBB105_6
; %bb.2:
	s_load_dwordx8 s[44:51], s[4:5], 0x3c
	s_load_dwordx8 s[20:27], s[4:5], 0x60
	;; [unrolled: 1-line block ×3, first 2 shown]
	s_load_dword s9, s[2:3], 0x0
	s_load_dword s0, s[4:5], 0x5c
	s_waitcnt lgkmcnt(0)
	v_mul_hi_u32 v4, s44, v1
	v_mul_hi_u32 v5, s47, v2
	;; [unrolled: 1-line block ×3, first 2 shown]
	v_mul_lo_u32 v7, v3, s26
	v_add_u32_e32 v4, v1, v4
	v_add_u32_e32 v5, v2, v5
	;; [unrolled: 1-line block ×3, first 2 shown]
	v_lshrrev_b32_e32 v4, s45, v4
	v_lshrrev_b32_e32 v5, s48, v5
	;; [unrolled: 1-line block ×3, first 2 shown]
	v_mul_lo_u32 v4, v4, s46
	v_mul_lo_u32 v5, v5, s49
	;; [unrolled: 1-line block ×5, first 2 shown]
	v_sub_u32_e32 v4, v1, v4
	v_sub_u32_e32 v5, v2, v5
	;; [unrolled: 1-line block ×3, first 2 shown]
	s_load_dword s10, s[4:5], 0x38
	s_load_dwordx2 s[0:1], s[4:5], 0x0
	s_load_dwordx2 s[2:3], s[4:5], 0x10
	v_mul_lo_u32 v6, v6, s38
	v_mul_lo_u32 v5, v5, s37
	;; [unrolled: 1-line block ×6, first 2 shown]
	v_add3_u32 v1, v8, v9, v7
	v_mov_b32_e32 v2, 0
	v_mov_b32_e32 v8, v2
	v_lshlrev_b64 v[1:2], 2, v[1:2]
	v_add3_u32 v4, v5, v6, v4
	v_add3_u32 v7, v10, v11, v3
	s_waitcnt lgkmcnt(0)
	v_mov_b32_e32 v3, s1
	v_add_co_u32_e32 v5, vcc, s0, v1
	v_addc_co_u32_e32 v6, vcc, v3, v2, vcc
	v_lshlrev_b64 v[1:2], 2, v[7:8]
	s_load_dwordx2 s[4:5], s[4:5], 0xa0
	v_mov_b32_e32 v3, s3
	v_add_co_u32_e32 v7, vcc, s2, v1
	v_addc_co_u32_e32 v8, vcc, v3, v2, vcc
	s_cmp_lg_u64 s[0:1], 0
	v_mul_lo_u32 v2, s23, v0
	s_cselect_b64 s[0:1], -1, 0
	s_mul_i32 s8, s9, s8
	v_cndmask_b32_e64 v1, 0, 1, s[0:1]
	s_mov_b64 s[6:7], 0
	s_mul_i32 s9, s8, s23
	s_sub_i32 s10, 0, s10
	v_cmp_ne_u32_e64 s[0:1], 1, v1
	v_mov_b32_e32 v9, s41
	v_mov_b32_e32 v10, s43
	s_waitcnt lgkmcnt(0)
	v_mov_b32_e32 v11, s5
	s_branch .LBB105_4
.LBB105_3:                              ;   in Loop: Header=BB105_4 Depth=1
	v_mul_hi_u32 v1, s18, v0
	v_add_u32_e32 v2, s9, v2
	v_add_u32_e32 v1, v0, v1
	v_lshrrev_b32_e32 v1, s19, v1
	v_mad_u64_u32 v[12:13], s[2:3], s10, v1, v[0:1]
	v_mul_lo_u32 v1, v12, s27
	v_add_co_u32_e32 v12, vcc, v1, v4
	v_addc_co_u32_e64 v13, s[2:3], 0, 0, vcc
	v_lshlrev_b64 v[12:13], 2, v[12:13]
	v_ashrrev_i32_e32 v1, 31, v0
	v_add_co_u32_e32 v14, vcc, s40, v12
	v_addc_co_u32_e32 v15, vcc, v9, v13, vcc
	global_load_dword v16, v[14:15], off
	v_add_co_u32_e32 v14, vcc, s42, v12
	v_addc_co_u32_e32 v15, vcc, v10, v13, vcc
	v_add_co_u32_e32 v12, vcc, s4, v12
	global_load_dword v14, v[14:15], off
	v_addc_co_u32_e32 v13, vcc, v11, v13, vcc
	global_load_dword v15, v[12:13], off
	v_lshlrev_b64 v[12:13], 2, v[0:1]
	v_add_u32_e32 v0, s8, v0
	v_cmp_le_i32_e32 vcc, s12, v0
	v_add_co_u32_e64 v12, s[2:3], v7, v12
	v_addc_co_u32_e64 v13, s[2:3], v8, v13, s[2:3]
	s_or_b64 s[6:7], vcc, s[6:7]
	s_waitcnt vmcnt(2)
	v_mul_f32_e32 v1, v3, v16
	s_waitcnt vmcnt(1)
	v_mul_f32_e32 v1, v1, v14
	;; [unrolled: 2-line block ×3, first 2 shown]
	global_store_dword v[12:13], v1, off
	s_andn2_b64 exec, exec, s[6:7]
	s_cbranch_execz .LBB105_6
.LBB105_4:                              ; =>This Inner Loop Header: Depth=1
	s_and_b64 vcc, exec, s[0:1]
	v_mov_b32_e32 v3, 0
	s_cbranch_vccnz .LBB105_3
; %bb.5:                                ;   in Loop: Header=BB105_4 Depth=1
	v_ashrrev_i32_e32 v3, 31, v2
	v_lshlrev_b64 v[12:13], 2, v[2:3]
	v_add_co_u32_e32 v12, vcc, v5, v12
	v_addc_co_u32_e32 v13, vcc, v6, v13, vcc
	global_load_dword v3, v[12:13], off
	s_branch .LBB105_3
.LBB105_6:
	s_endpgm
	.section	.rodata,"a",@progbits
	.p2align	6, 0x0
	.amdhsa_kernel _ZL11k_bin_bcastIXadL_ZL6op_mulffEEfffJPKfS1_S1_EEvPKT0_PKT1_PT2_iii15HIP_vector_typeIjLj3EESB_SB_SB_SB_iiiiiiiiiiiDpT3_
		.amdhsa_group_segment_fixed_size 0
		.amdhsa_private_segment_fixed_size 0
		.amdhsa_kernarg_size 424
		.amdhsa_user_sgpr_count 6
		.amdhsa_user_sgpr_private_segment_buffer 1
		.amdhsa_user_sgpr_dispatch_ptr 0
		.amdhsa_user_sgpr_queue_ptr 0
		.amdhsa_user_sgpr_kernarg_segment_ptr 1
		.amdhsa_user_sgpr_dispatch_id 0
		.amdhsa_user_sgpr_flat_scratch_init 0
		.amdhsa_user_sgpr_private_segment_size 0
		.amdhsa_uses_dynamic_stack 0
		.amdhsa_system_sgpr_private_segment_wavefront_offset 0
		.amdhsa_system_sgpr_workgroup_id_x 1
		.amdhsa_system_sgpr_workgroup_id_y 1
		.amdhsa_system_sgpr_workgroup_id_z 1
		.amdhsa_system_sgpr_workgroup_info 0
		.amdhsa_system_vgpr_workitem_id 2
		.amdhsa_next_free_vgpr 17
		.amdhsa_next_free_sgpr 52
		.amdhsa_reserve_vcc 1
		.amdhsa_reserve_flat_scratch 0
		.amdhsa_float_round_mode_32 0
		.amdhsa_float_round_mode_16_64 0
		.amdhsa_float_denorm_mode_32 3
		.amdhsa_float_denorm_mode_16_64 3
		.amdhsa_dx10_clamp 1
		.amdhsa_ieee_mode 1
		.amdhsa_fp16_overflow 0
		.amdhsa_exception_fp_ieee_invalid_op 0
		.amdhsa_exception_fp_denorm_src 0
		.amdhsa_exception_fp_ieee_div_zero 0
		.amdhsa_exception_fp_ieee_overflow 0
		.amdhsa_exception_fp_ieee_underflow 0
		.amdhsa_exception_fp_ieee_inexact 0
		.amdhsa_exception_int_div_zero 0
	.end_amdhsa_kernel
	.section	.text._ZL11k_bin_bcastIXadL_ZL6op_mulffEEfffJPKfS1_S1_EEvPKT0_PKT1_PT2_iii15HIP_vector_typeIjLj3EESB_SB_SB_SB_iiiiiiiiiiiDpT3_,"axG",@progbits,_ZL11k_bin_bcastIXadL_ZL6op_mulffEEfffJPKfS1_S1_EEvPKT0_PKT1_PT2_iii15HIP_vector_typeIjLj3EESB_SB_SB_SB_iiiiiiiiiiiDpT3_,comdat
.Lfunc_end105:
	.size	_ZL11k_bin_bcastIXadL_ZL6op_mulffEEfffJPKfS1_S1_EEvPKT0_PKT1_PT2_iii15HIP_vector_typeIjLj3EESB_SB_SB_SB_iiiiiiiiiiiDpT3_, .Lfunc_end105-_ZL11k_bin_bcastIXadL_ZL6op_mulffEEfffJPKfS1_S1_EEvPKT0_PKT1_PT2_iii15HIP_vector_typeIjLj3EESB_SB_SB_SB_iiiiiiiiiiiDpT3_
                                        ; -- End function
	.set _ZL11k_bin_bcastIXadL_ZL6op_mulffEEfffJPKfS1_S1_EEvPKT0_PKT1_PT2_iii15HIP_vector_typeIjLj3EESB_SB_SB_SB_iiiiiiiiiiiDpT3_.num_vgpr, 17
	.set _ZL11k_bin_bcastIXadL_ZL6op_mulffEEfffJPKfS1_S1_EEvPKT0_PKT1_PT2_iii15HIP_vector_typeIjLj3EESB_SB_SB_SB_iiiiiiiiiiiDpT3_.num_agpr, 0
	.set _ZL11k_bin_bcastIXadL_ZL6op_mulffEEfffJPKfS1_S1_EEvPKT0_PKT1_PT2_iii15HIP_vector_typeIjLj3EESB_SB_SB_SB_iiiiiiiiiiiDpT3_.numbered_sgpr, 52
	.set _ZL11k_bin_bcastIXadL_ZL6op_mulffEEfffJPKfS1_S1_EEvPKT0_PKT1_PT2_iii15HIP_vector_typeIjLj3EESB_SB_SB_SB_iiiiiiiiiiiDpT3_.num_named_barrier, 0
	.set _ZL11k_bin_bcastIXadL_ZL6op_mulffEEfffJPKfS1_S1_EEvPKT0_PKT1_PT2_iii15HIP_vector_typeIjLj3EESB_SB_SB_SB_iiiiiiiiiiiDpT3_.private_seg_size, 0
	.set _ZL11k_bin_bcastIXadL_ZL6op_mulffEEfffJPKfS1_S1_EEvPKT0_PKT1_PT2_iii15HIP_vector_typeIjLj3EESB_SB_SB_SB_iiiiiiiiiiiDpT3_.uses_vcc, 1
	.set _ZL11k_bin_bcastIXadL_ZL6op_mulffEEfffJPKfS1_S1_EEvPKT0_PKT1_PT2_iii15HIP_vector_typeIjLj3EESB_SB_SB_SB_iiiiiiiiiiiDpT3_.uses_flat_scratch, 0
	.set _ZL11k_bin_bcastIXadL_ZL6op_mulffEEfffJPKfS1_S1_EEvPKT0_PKT1_PT2_iii15HIP_vector_typeIjLj3EESB_SB_SB_SB_iiiiiiiiiiiDpT3_.has_dyn_sized_stack, 0
	.set _ZL11k_bin_bcastIXadL_ZL6op_mulffEEfffJPKfS1_S1_EEvPKT0_PKT1_PT2_iii15HIP_vector_typeIjLj3EESB_SB_SB_SB_iiiiiiiiiiiDpT3_.has_recursion, 0
	.set _ZL11k_bin_bcastIXadL_ZL6op_mulffEEfffJPKfS1_S1_EEvPKT0_PKT1_PT2_iii15HIP_vector_typeIjLj3EESB_SB_SB_SB_iiiiiiiiiiiDpT3_.has_indirect_call, 0
	.section	.AMDGPU.csdata,"",@progbits
; Kernel info:
; codeLenInByte = 764
; TotalNumSgprs: 56
; NumVgprs: 17
; ScratchSize: 0
; MemoryBound: 0
; FloatMode: 240
; IeeeMode: 1
; LDSByteSize: 0 bytes/workgroup (compile time only)
; SGPRBlocks: 6
; VGPRBlocks: 4
; NumSGPRsForWavesPerEU: 56
; NumVGPRsForWavesPerEU: 17
; Occupancy: 10
; WaveLimiterHint : 1
; COMPUTE_PGM_RSRC2:SCRATCH_EN: 0
; COMPUTE_PGM_RSRC2:USER_SGPR: 6
; COMPUTE_PGM_RSRC2:TRAP_HANDLER: 0
; COMPUTE_PGM_RSRC2:TGID_X_EN: 1
; COMPUTE_PGM_RSRC2:TGID_Y_EN: 1
; COMPUTE_PGM_RSRC2:TGID_Z_EN: 1
; COMPUTE_PGM_RSRC2:TIDIG_COMP_CNT: 2
	.section	.text._ZL19k_bin_bcast_unravelIXadL_ZL6op_mulffEE6__halfS0_S0_JPKS0_S2_S2_EEvPKT0_PKT1_PT2_15HIP_vector_typeIjLj3EESC_SC_jSC_SC_SC_SC_SC_SC_iiiiiiiiiiiDpT3_,"axG",@progbits,_ZL19k_bin_bcast_unravelIXadL_ZL6op_mulffEE6__halfS0_S0_JPKS0_S2_S2_EEvPKT0_PKT1_PT2_15HIP_vector_typeIjLj3EESC_SC_jSC_SC_SC_SC_SC_SC_iiiiiiiiiiiDpT3_,comdat
	.globl	_ZL19k_bin_bcast_unravelIXadL_ZL6op_mulffEE6__halfS0_S0_JPKS0_S2_S2_EEvPKT0_PKT1_PT2_15HIP_vector_typeIjLj3EESC_SC_jSC_SC_SC_SC_SC_SC_iiiiiiiiiiiDpT3_ ; -- Begin function _ZL19k_bin_bcast_unravelIXadL_ZL6op_mulffEE6__halfS0_S0_JPKS0_S2_S2_EEvPKT0_PKT1_PT2_15HIP_vector_typeIjLj3EESC_SC_jSC_SC_SC_SC_SC_SC_iiiiiiiiiiiDpT3_
	.p2align	8
	.type	_ZL19k_bin_bcast_unravelIXadL_ZL6op_mulffEE6__halfS0_S0_JPKS0_S2_S2_EEvPKT0_PKT1_PT2_15HIP_vector_typeIjLj3EESC_SC_jSC_SC_SC_SC_SC_SC_iiiiiiiiiiiDpT3_,@function
_ZL19k_bin_bcast_unravelIXadL_ZL6op_mulffEE6__halfS0_S0_JPKS0_S2_S2_EEvPKT0_PKT1_PT2_15HIP_vector_typeIjLj3EESC_SC_jSC_SC_SC_SC_SC_SC_iiiiiiiiiiiDpT3_: ; @_ZL19k_bin_bcast_unravelIXadL_ZL6op_mulffEE6__halfS0_S0_JPKS0_S2_S2_EEvPKT0_PKT1_PT2_15HIP_vector_typeIjLj3EESC_SC_jSC_SC_SC_SC_SC_SC_iiiiiiiiiiiDpT3_
; %bb.0:
	s_load_dword s0, s[4:5], 0xdc
	s_load_dwordx8 s[8:15], s[4:5], 0x38
	s_waitcnt lgkmcnt(0)
	s_and_b32 s0, s0, 0xffff
	s_mul_i32 s6, s6, s0
	v_add_u32_e32 v0, s6, v0
	v_mul_hi_u32 v1, v0, s10
	s_load_dwordx4 s[0:3], s[4:5], 0x18
	s_waitcnt lgkmcnt(0)
	s_load_dword s3, s[4:5], 0x2c
	v_add_u32_e32 v1, v0, v1
	v_lshrrev_b32_e32 v1, s11, v1
	v_mul_lo_u32 v2, v1, s12
	v_sub_u32_e32 v0, v0, v2
	v_mul_hi_u32 v2, v0, s13
	v_add_u32_e32 v2, v0, v2
	v_lshrrev_b32_e32 v3, s14, v2
	v_mul_lo_u32 v2, v3, s15
	v_cmp_gt_u32_e32 vcc, s8, v3
	v_sub_u32_e32 v0, v0, v2
	v_mul_hi_u32 v2, v0, s0
	v_add_u32_e32 v2, v0, v2
	v_lshrrev_b32_e32 v4, s1, v2
	v_mul_lo_u32 v2, v4, s2
	s_waitcnt lgkmcnt(0)
	v_cmp_gt_u32_e64 s[0:1], s3, v4
	v_sub_u32_e32 v0, v0, v2
	v_cmp_gt_u32_e64 s[2:3], s2, v0
	s_and_b64 s[0:1], s[2:3], s[0:1]
	s_and_b64 s[0:1], s[0:1], vcc
	v_cmp_gt_u32_e32 vcc, s9, v1
	s_and_b64 s[0:1], vcc, s[0:1]
	s_and_saveexec_b64 s[2:3], s[0:1]
	s_cbranch_execz .LBB106_4
; %bb.1:
	s_load_dwordx2 s[6:7], s[4:5], 0x0
	s_load_dwordx4 s[0:3], s[4:5], 0xa8
	s_load_dwordx8 s[8:15], s[4:5], 0x88
	s_load_dwordx4 s[24:27], s[4:5], 0x78
	s_load_dwordx8 s[16:23], s[4:5], 0x58
	v_mov_b32_e32 v2, 0
	s_waitcnt lgkmcnt(0)
	s_cmp_eq_u64 s[6:7], 0
	v_mov_b32_e32 v5, 0
	s_cbranch_scc1 .LBB106_3
; %bb.2:
	v_mul_lo_u32 v5, v1, s14
	v_mul_lo_u32 v7, v3, s13
	;; [unrolled: 1-line block ×3, first 2 shown]
	v_mov_b32_e32 v6, 0
	v_mov_b32_e32 v9, s7
	v_add3_u32 v5, v7, v5, v8
	v_lshlrev_b64 v[7:8], 1, v[5:6]
	v_mul_lo_u32 v5, v0, s11
	v_add_co_u32_e32 v7, vcc, s6, v7
	v_addc_co_u32_e32 v8, vcc, v9, v8, vcc
	v_lshlrev_b64 v[5:6], 1, v[5:6]
	v_add_co_u32_e32 v5, vcc, v7, v5
	v_addc_co_u32_e32 v6, vcc, v8, v6, vcc
	global_load_ushort v5, v[5:6], off
	s_waitcnt vmcnt(0)
	v_cvt_f32_f16_e32 v5, v5
.LBB106_3:
	v_mul_hi_u32 v6, s19, v4
	v_mul_hi_u32 v7, s22, v3
	;; [unrolled: 1-line block ×4, first 2 shown]
	v_add_u32_e32 v6, v4, v6
	v_add_u32_e32 v7, v3, v7
	;; [unrolled: 1-line block ×3, first 2 shown]
	v_lshrrev_b32_e32 v6, s20, v6
	v_lshrrev_b32_e32 v7, s23, v7
	;; [unrolled: 1-line block ×3, first 2 shown]
	v_mul_lo_u32 v6, v6, s21
	v_mul_lo_u32 v7, v7, s24
	;; [unrolled: 1-line block ×3, first 2 shown]
	v_add_u32_e32 v9, v0, v9
	v_sub_u32_e32 v6, v4, v6
	v_sub_u32_e32 v7, v3, v7
	;; [unrolled: 1-line block ×3, first 2 shown]
	v_lshrrev_b32_e32 v9, s17, v9
	v_mul_lo_u32 v8, v8, s2
	v_mul_lo_u32 v7, v7, s1
	v_mul_lo_u32 v6, v6, s0
	v_mul_lo_u32 v9, v9, s18
	s_load_dwordx2 s[6:7], s[4:5], 0xc8
	s_load_dwordx4 s[0:3], s[4:5], 0xb8
	v_mul_lo_u32 v11, v4, s8
	v_add3_u32 v6, v7, v8, v6
	v_sub_u32_e32 v7, v0, v9
	v_mul_lo_u32 v7, v7, s15
	v_ashrrev_i32_e32 v8, 31, v6
	v_ashrrev_i32_e32 v9, 31, v7
	v_add_co_u32_e32 v6, vcc, v7, v6
	v_addc_co_u32_e32 v7, vcc, v9, v8, vcc
	v_lshlrev_b64 v[6:7], 1, v[6:7]
	s_waitcnt lgkmcnt(0)
	v_mov_b32_e32 v9, s1
	v_add_co_u32_e32 v8, vcc, s0, v6
	v_addc_co_u32_e32 v9, vcc, v9, v7, vcc
	global_load_ushort v10, v[8:9], off
	v_mov_b32_e32 v9, s3
	v_add_co_u32_e32 v8, vcc, s2, v6
	v_addc_co_u32_e32 v9, vcc, v9, v7, vcc
	global_load_ushort v8, v[8:9], off
	;; [unrolled: 4-line block ×3, first 2 shown]
	v_mul_lo_u32 v7, v1, s10
	v_mul_lo_u32 v9, v3, s9
	s_load_dwordx2 s[0:1], s[4:5], 0x10
	v_mov_b32_e32 v1, v2
	v_lshlrev_b64 v[3:4], 1, v[0:1]
	v_add3_u32 v1, v9, v7, v11
	v_lshlrev_b64 v[0:1], 1, v[1:2]
	s_waitcnt lgkmcnt(0)
	v_mov_b32_e32 v2, s1
	v_add_co_u32_e32 v0, vcc, s0, v0
	v_addc_co_u32_e32 v1, vcc, v2, v1, vcc
	v_add_co_u32_e32 v0, vcc, v0, v3
	v_addc_co_u32_e32 v1, vcc, v1, v4, vcc
	s_waitcnt vmcnt(2)
	v_cvt_f32_f16_e32 v7, v10
	v_mul_f32_e32 v2, v5, v7
	s_waitcnt vmcnt(1)
	v_cvt_f32_f16_e32 v8, v8
	v_mul_f32_e32 v2, v2, v8
	s_waitcnt vmcnt(0)
	v_fma_mixlo_f16 v2, v2, v6, 0 op_sel_hi:[0,1,0]
	global_store_short v[0:1], v2, off
.LBB106_4:
	s_endpgm
	.section	.rodata,"a",@progbits
	.p2align	6, 0x0
	.amdhsa_kernel _ZL19k_bin_bcast_unravelIXadL_ZL6op_mulffEE6__halfS0_S0_JPKS0_S2_S2_EEvPKT0_PKT1_PT2_15HIP_vector_typeIjLj3EESC_SC_jSC_SC_SC_SC_SC_SC_iiiiiiiiiiiDpT3_
		.amdhsa_group_segment_fixed_size 0
		.amdhsa_private_segment_fixed_size 0
		.amdhsa_kernarg_size 464
		.amdhsa_user_sgpr_count 6
		.amdhsa_user_sgpr_private_segment_buffer 1
		.amdhsa_user_sgpr_dispatch_ptr 0
		.amdhsa_user_sgpr_queue_ptr 0
		.amdhsa_user_sgpr_kernarg_segment_ptr 1
		.amdhsa_user_sgpr_dispatch_id 0
		.amdhsa_user_sgpr_flat_scratch_init 0
		.amdhsa_user_sgpr_private_segment_size 0
		.amdhsa_uses_dynamic_stack 0
		.amdhsa_system_sgpr_private_segment_wavefront_offset 0
		.amdhsa_system_sgpr_workgroup_id_x 1
		.amdhsa_system_sgpr_workgroup_id_y 0
		.amdhsa_system_sgpr_workgroup_id_z 0
		.amdhsa_system_sgpr_workgroup_info 0
		.amdhsa_system_vgpr_workitem_id 0
		.amdhsa_next_free_vgpr 12
		.amdhsa_next_free_sgpr 28
		.amdhsa_reserve_vcc 1
		.amdhsa_reserve_flat_scratch 0
		.amdhsa_float_round_mode_32 0
		.amdhsa_float_round_mode_16_64 0
		.amdhsa_float_denorm_mode_32 3
		.amdhsa_float_denorm_mode_16_64 3
		.amdhsa_dx10_clamp 1
		.amdhsa_ieee_mode 1
		.amdhsa_fp16_overflow 0
		.amdhsa_exception_fp_ieee_invalid_op 0
		.amdhsa_exception_fp_denorm_src 0
		.amdhsa_exception_fp_ieee_div_zero 0
		.amdhsa_exception_fp_ieee_overflow 0
		.amdhsa_exception_fp_ieee_underflow 0
		.amdhsa_exception_fp_ieee_inexact 0
		.amdhsa_exception_int_div_zero 0
	.end_amdhsa_kernel
	.section	.text._ZL19k_bin_bcast_unravelIXadL_ZL6op_mulffEE6__halfS0_S0_JPKS0_S2_S2_EEvPKT0_PKT1_PT2_15HIP_vector_typeIjLj3EESC_SC_jSC_SC_SC_SC_SC_SC_iiiiiiiiiiiDpT3_,"axG",@progbits,_ZL19k_bin_bcast_unravelIXadL_ZL6op_mulffEE6__halfS0_S0_JPKS0_S2_S2_EEvPKT0_PKT1_PT2_15HIP_vector_typeIjLj3EESC_SC_jSC_SC_SC_SC_SC_SC_iiiiiiiiiiiDpT3_,comdat
.Lfunc_end106:
	.size	_ZL19k_bin_bcast_unravelIXadL_ZL6op_mulffEE6__halfS0_S0_JPKS0_S2_S2_EEvPKT0_PKT1_PT2_15HIP_vector_typeIjLj3EESC_SC_jSC_SC_SC_SC_SC_SC_iiiiiiiiiiiDpT3_, .Lfunc_end106-_ZL19k_bin_bcast_unravelIXadL_ZL6op_mulffEE6__halfS0_S0_JPKS0_S2_S2_EEvPKT0_PKT1_PT2_15HIP_vector_typeIjLj3EESC_SC_jSC_SC_SC_SC_SC_SC_iiiiiiiiiiiDpT3_
                                        ; -- End function
	.set _ZL19k_bin_bcast_unravelIXadL_ZL6op_mulffEE6__halfS0_S0_JPKS0_S2_S2_EEvPKT0_PKT1_PT2_15HIP_vector_typeIjLj3EESC_SC_jSC_SC_SC_SC_SC_SC_iiiiiiiiiiiDpT3_.num_vgpr, 12
	.set _ZL19k_bin_bcast_unravelIXadL_ZL6op_mulffEE6__halfS0_S0_JPKS0_S2_S2_EEvPKT0_PKT1_PT2_15HIP_vector_typeIjLj3EESC_SC_jSC_SC_SC_SC_SC_SC_iiiiiiiiiiiDpT3_.num_agpr, 0
	.set _ZL19k_bin_bcast_unravelIXadL_ZL6op_mulffEE6__halfS0_S0_JPKS0_S2_S2_EEvPKT0_PKT1_PT2_15HIP_vector_typeIjLj3EESC_SC_jSC_SC_SC_SC_SC_SC_iiiiiiiiiiiDpT3_.numbered_sgpr, 28
	.set _ZL19k_bin_bcast_unravelIXadL_ZL6op_mulffEE6__halfS0_S0_JPKS0_S2_S2_EEvPKT0_PKT1_PT2_15HIP_vector_typeIjLj3EESC_SC_jSC_SC_SC_SC_SC_SC_iiiiiiiiiiiDpT3_.num_named_barrier, 0
	.set _ZL19k_bin_bcast_unravelIXadL_ZL6op_mulffEE6__halfS0_S0_JPKS0_S2_S2_EEvPKT0_PKT1_PT2_15HIP_vector_typeIjLj3EESC_SC_jSC_SC_SC_SC_SC_SC_iiiiiiiiiiiDpT3_.private_seg_size, 0
	.set _ZL19k_bin_bcast_unravelIXadL_ZL6op_mulffEE6__halfS0_S0_JPKS0_S2_S2_EEvPKT0_PKT1_PT2_15HIP_vector_typeIjLj3EESC_SC_jSC_SC_SC_SC_SC_SC_iiiiiiiiiiiDpT3_.uses_vcc, 1
	.set _ZL19k_bin_bcast_unravelIXadL_ZL6op_mulffEE6__halfS0_S0_JPKS0_S2_S2_EEvPKT0_PKT1_PT2_15HIP_vector_typeIjLj3EESC_SC_jSC_SC_SC_SC_SC_SC_iiiiiiiiiiiDpT3_.uses_flat_scratch, 0
	.set _ZL19k_bin_bcast_unravelIXadL_ZL6op_mulffEE6__halfS0_S0_JPKS0_S2_S2_EEvPKT0_PKT1_PT2_15HIP_vector_typeIjLj3EESC_SC_jSC_SC_SC_SC_SC_SC_iiiiiiiiiiiDpT3_.has_dyn_sized_stack, 0
	.set _ZL19k_bin_bcast_unravelIXadL_ZL6op_mulffEE6__halfS0_S0_JPKS0_S2_S2_EEvPKT0_PKT1_PT2_15HIP_vector_typeIjLj3EESC_SC_jSC_SC_SC_SC_SC_SC_iiiiiiiiiiiDpT3_.has_recursion, 0
	.set _ZL19k_bin_bcast_unravelIXadL_ZL6op_mulffEE6__halfS0_S0_JPKS0_S2_S2_EEvPKT0_PKT1_PT2_15HIP_vector_typeIjLj3EESC_SC_jSC_SC_SC_SC_SC_SC_iiiiiiiiiiiDpT3_.has_indirect_call, 0
	.section	.AMDGPU.csdata,"",@progbits
; Kernel info:
; codeLenInByte = 732
; TotalNumSgprs: 32
; NumVgprs: 12
; ScratchSize: 0
; MemoryBound: 0
; FloatMode: 240
; IeeeMode: 1
; LDSByteSize: 0 bytes/workgroup (compile time only)
; SGPRBlocks: 3
; VGPRBlocks: 2
; NumSGPRsForWavesPerEU: 32
; NumVGPRsForWavesPerEU: 12
; Occupancy: 10
; WaveLimiterHint : 1
; COMPUTE_PGM_RSRC2:SCRATCH_EN: 0
; COMPUTE_PGM_RSRC2:USER_SGPR: 6
; COMPUTE_PGM_RSRC2:TRAP_HANDLER: 0
; COMPUTE_PGM_RSRC2:TGID_X_EN: 1
; COMPUTE_PGM_RSRC2:TGID_Y_EN: 0
; COMPUTE_PGM_RSRC2:TGID_Z_EN: 0
; COMPUTE_PGM_RSRC2:TIDIG_COMP_CNT: 0
	.section	.text._ZL11k_bin_bcastIXadL_ZL6op_mulffEE6__halfS0_S0_JPKS0_S2_S2_EEvPKT0_PKT1_PT2_iii15HIP_vector_typeIjLj3EESC_SC_SC_SC_iiiiiiiiiiiDpT3_,"axG",@progbits,_ZL11k_bin_bcastIXadL_ZL6op_mulffEE6__halfS0_S0_JPKS0_S2_S2_EEvPKT0_PKT1_PT2_iii15HIP_vector_typeIjLj3EESC_SC_SC_SC_iiiiiiiiiiiDpT3_,comdat
	.globl	_ZL11k_bin_bcastIXadL_ZL6op_mulffEE6__halfS0_S0_JPKS0_S2_S2_EEvPKT0_PKT1_PT2_iii15HIP_vector_typeIjLj3EESC_SC_SC_SC_iiiiiiiiiiiDpT3_ ; -- Begin function _ZL11k_bin_bcastIXadL_ZL6op_mulffEE6__halfS0_S0_JPKS0_S2_S2_EEvPKT0_PKT1_PT2_iii15HIP_vector_typeIjLj3EESC_SC_SC_SC_iiiiiiiiiiiDpT3_
	.p2align	8
	.type	_ZL11k_bin_bcastIXadL_ZL6op_mulffEE6__halfS0_S0_JPKS0_S2_S2_EEvPKT0_PKT1_PT2_iii15HIP_vector_typeIjLj3EESC_SC_SC_SC_iiiiiiiiiiiDpT3_,@function
_ZL11k_bin_bcastIXadL_ZL6op_mulffEE6__halfS0_S0_JPKS0_S2_S2_EEvPKT0_PKT1_PT2_iii15HIP_vector_typeIjLj3EESC_SC_SC_SC_iiiiiiiiiiiDpT3_: ; @_ZL11k_bin_bcastIXadL_ZL6op_mulffEE6__halfS0_S0_JPKS0_S2_S2_EEvPKT0_PKT1_PT2_iii15HIP_vector_typeIjLj3EESC_SC_SC_SC_iiiiiiiiiiiDpT3_
; %bb.0:
	s_load_dwordx2 s[0:1], s[4:5], 0xb4
	s_load_dwordx8 s[12:19], s[4:5], 0x18
	s_add_u32 s2, s4, 0xa8
	s_addc_u32 s3, s5, 0
	s_waitcnt lgkmcnt(0)
	s_and_b32 s1, s1, 0xffff
	s_mul_i32 s8, s8, s1
	v_add_u32_e32 v3, s8, v2
	v_mul_hi_u32 v2, v3, s15
	s_lshr_b32 s1, s0, 16
	s_and_b32 s8, s0, 0xffff
	s_mul_i32 s6, s6, s8
	v_add_u32_e32 v2, v3, v2
	v_lshrrev_b32_e32 v2, s16, v2
	v_mul_lo_u32 v4, v2, s17
	s_mul_i32 s7, s7, s1
	v_add_u32_e32 v0, s6, v0
	v_add_u32_e32 v1, s7, v1
	v_cmp_gt_u32_e32 vcc, s12, v0
	v_cmp_gt_u32_e64 s[0:1], s13, v1
	v_sub_u32_e32 v3, v3, v4
	s_and_b64 s[0:1], vcc, s[0:1]
	v_cmp_gt_u32_e32 vcc, s14, v2
	s_and_b64 s[0:1], s[0:1], vcc
	v_cmp_gt_u32_e32 vcc, s17, v3
	s_and_b64 s[0:1], s[0:1], vcc
	s_and_saveexec_b64 s[6:7], s[0:1]
	s_cbranch_execz .LBB107_6
; %bb.1:
	v_cmp_gt_i32_e32 vcc, s12, v0
	s_and_b64 exec, exec, vcc
	s_cbranch_execz .LBB107_6
; %bb.2:
	s_load_dwordx8 s[44:51], s[4:5], 0x3c
	s_load_dwordx8 s[20:27], s[4:5], 0x60
	;; [unrolled: 1-line block ×3, first 2 shown]
	s_load_dword s9, s[2:3], 0x0
	s_load_dword s0, s[4:5], 0x5c
	s_waitcnt lgkmcnt(0)
	v_mul_hi_u32 v4, s44, v1
	v_mul_hi_u32 v5, s47, v2
	;; [unrolled: 1-line block ×3, first 2 shown]
	v_mul_lo_u32 v7, v3, s26
	v_add_u32_e32 v4, v1, v4
	v_add_u32_e32 v5, v2, v5
	;; [unrolled: 1-line block ×3, first 2 shown]
	v_lshrrev_b32_e32 v4, s45, v4
	v_lshrrev_b32_e32 v5, s48, v5
	v_lshrrev_b32_e32 v6, s51, v6
	v_mul_lo_u32 v4, v4, s46
	v_mul_lo_u32 v5, v5, s49
	;; [unrolled: 1-line block ×5, first 2 shown]
	v_sub_u32_e32 v4, v1, v4
	v_sub_u32_e32 v5, v2, v5
	;; [unrolled: 1-line block ×3, first 2 shown]
	s_load_dword s10, s[4:5], 0x38
	s_load_dwordx2 s[0:1], s[4:5], 0x0
	s_load_dwordx2 s[2:3], s[4:5], 0x10
	v_mul_lo_u32 v6, v6, s38
	v_mul_lo_u32 v5, v5, s37
	v_mul_lo_u32 v4, v4, s36
	v_mul_lo_u32 v3, v3, s22
	v_mul_lo_u32 v10, v2, s21
	v_mul_lo_u32 v11, v1, s20
	v_add3_u32 v1, v8, v9, v7
	v_mov_b32_e32 v2, 0
	v_mov_b32_e32 v8, v2
	v_lshlrev_b64 v[1:2], 1, v[1:2]
	v_add3_u32 v4, v5, v6, v4
	v_add3_u32 v7, v10, v11, v3
	s_waitcnt lgkmcnt(0)
	v_mov_b32_e32 v3, s1
	v_add_co_u32_e32 v5, vcc, s0, v1
	v_addc_co_u32_e32 v6, vcc, v3, v2, vcc
	v_lshlrev_b64 v[1:2], 1, v[7:8]
	s_load_dwordx2 s[4:5], s[4:5], 0xa0
	v_mov_b32_e32 v3, s3
	v_add_co_u32_e32 v7, vcc, s2, v1
	v_addc_co_u32_e32 v8, vcc, v3, v2, vcc
	s_cmp_lg_u64 s[0:1], 0
	v_mul_lo_u32 v2, s23, v0
	s_cselect_b64 s[0:1], -1, 0
	s_mul_i32 s8, s9, s8
	v_cndmask_b32_e64 v1, 0, 1, s[0:1]
	s_mov_b64 s[6:7], 0
	s_mul_i32 s9, s8, s23
	s_sub_i32 s10, 0, s10
	v_cmp_ne_u32_e64 s[0:1], 1, v1
	v_mov_b32_e32 v9, s41
	v_mov_b32_e32 v10, s43
	s_waitcnt lgkmcnt(0)
	v_mov_b32_e32 v11, s5
	s_branch .LBB107_4
.LBB107_3:                              ;   in Loop: Header=BB107_4 Depth=1
	v_mul_hi_u32 v1, s18, v0
	v_add_u32_e32 v2, s9, v2
	v_add_u32_e32 v1, v0, v1
	v_lshrrev_b32_e32 v1, s19, v1
	v_mad_u64_u32 v[12:13], s[2:3], s10, v1, v[0:1]
	v_mul_lo_u32 v1, v12, s27
	v_add_co_u32_e32 v12, vcc, v1, v4
	v_addc_co_u32_e64 v13, s[2:3], 0, 0, vcc
	v_lshlrev_b64 v[12:13], 1, v[12:13]
	v_ashrrev_i32_e32 v1, 31, v0
	v_add_co_u32_e32 v14, vcc, s40, v12
	v_addc_co_u32_e32 v15, vcc, v9, v13, vcc
	global_load_ushort v16, v[14:15], off
	v_add_co_u32_e32 v14, vcc, s42, v12
	v_addc_co_u32_e32 v15, vcc, v10, v13, vcc
	global_load_ushort v14, v[14:15], off
	;; [unrolled: 3-line block ×3, first 2 shown]
	v_lshlrev_b64 v[12:13], 1, v[0:1]
	v_add_u32_e32 v0, s8, v0
	v_cmp_le_i32_e32 vcc, s12, v0
	v_add_co_u32_e64 v12, s[2:3], v7, v12
	v_addc_co_u32_e64 v13, s[2:3], v8, v13, s[2:3]
	s_or_b64 s[6:7], vcc, s[6:7]
	s_waitcnt vmcnt(2)
	v_cvt_f32_f16_e32 v1, v16
	v_mul_f32_e32 v1, v3, v1
	s_waitcnt vmcnt(1)
	v_cvt_f32_f16_e32 v14, v14
	v_mul_f32_e32 v1, v1, v14
	s_waitcnt vmcnt(0)
	v_fma_mixlo_f16 v1, v1, v15, 0 op_sel_hi:[0,1,0]
	global_store_short v[12:13], v1, off
	s_andn2_b64 exec, exec, s[6:7]
	s_cbranch_execz .LBB107_6
.LBB107_4:                              ; =>This Inner Loop Header: Depth=1
	s_and_b64 vcc, exec, s[0:1]
	v_mov_b32_e32 v3, 0
	s_cbranch_vccnz .LBB107_3
; %bb.5:                                ;   in Loop: Header=BB107_4 Depth=1
	v_ashrrev_i32_e32 v3, 31, v2
	v_lshlrev_b64 v[12:13], 1, v[2:3]
	v_add_co_u32_e32 v12, vcc, v5, v12
	v_addc_co_u32_e32 v13, vcc, v6, v13, vcc
	global_load_ushort v1, v[12:13], off
	s_waitcnt vmcnt(0)
	v_cvt_f32_f16_e32 v3, v1
	s_branch .LBB107_3
.LBB107_6:
	s_endpgm
	.section	.rodata,"a",@progbits
	.p2align	6, 0x0
	.amdhsa_kernel _ZL11k_bin_bcastIXadL_ZL6op_mulffEE6__halfS0_S0_JPKS0_S2_S2_EEvPKT0_PKT1_PT2_iii15HIP_vector_typeIjLj3EESC_SC_SC_SC_iiiiiiiiiiiDpT3_
		.amdhsa_group_segment_fixed_size 0
		.amdhsa_private_segment_fixed_size 0
		.amdhsa_kernarg_size 424
		.amdhsa_user_sgpr_count 6
		.amdhsa_user_sgpr_private_segment_buffer 1
		.amdhsa_user_sgpr_dispatch_ptr 0
		.amdhsa_user_sgpr_queue_ptr 0
		.amdhsa_user_sgpr_kernarg_segment_ptr 1
		.amdhsa_user_sgpr_dispatch_id 0
		.amdhsa_user_sgpr_flat_scratch_init 0
		.amdhsa_user_sgpr_private_segment_size 0
		.amdhsa_uses_dynamic_stack 0
		.amdhsa_system_sgpr_private_segment_wavefront_offset 0
		.amdhsa_system_sgpr_workgroup_id_x 1
		.amdhsa_system_sgpr_workgroup_id_y 1
		.amdhsa_system_sgpr_workgroup_id_z 1
		.amdhsa_system_sgpr_workgroup_info 0
		.amdhsa_system_vgpr_workitem_id 2
		.amdhsa_next_free_vgpr 17
		.amdhsa_next_free_sgpr 52
		.amdhsa_reserve_vcc 1
		.amdhsa_reserve_flat_scratch 0
		.amdhsa_float_round_mode_32 0
		.amdhsa_float_round_mode_16_64 0
		.amdhsa_float_denorm_mode_32 3
		.amdhsa_float_denorm_mode_16_64 3
		.amdhsa_dx10_clamp 1
		.amdhsa_ieee_mode 1
		.amdhsa_fp16_overflow 0
		.amdhsa_exception_fp_ieee_invalid_op 0
		.amdhsa_exception_fp_denorm_src 0
		.amdhsa_exception_fp_ieee_div_zero 0
		.amdhsa_exception_fp_ieee_overflow 0
		.amdhsa_exception_fp_ieee_underflow 0
		.amdhsa_exception_fp_ieee_inexact 0
		.amdhsa_exception_int_div_zero 0
	.end_amdhsa_kernel
	.section	.text._ZL11k_bin_bcastIXadL_ZL6op_mulffEE6__halfS0_S0_JPKS0_S2_S2_EEvPKT0_PKT1_PT2_iii15HIP_vector_typeIjLj3EESC_SC_SC_SC_iiiiiiiiiiiDpT3_,"axG",@progbits,_ZL11k_bin_bcastIXadL_ZL6op_mulffEE6__halfS0_S0_JPKS0_S2_S2_EEvPKT0_PKT1_PT2_iii15HIP_vector_typeIjLj3EESC_SC_SC_SC_iiiiiiiiiiiDpT3_,comdat
.Lfunc_end107:
	.size	_ZL11k_bin_bcastIXadL_ZL6op_mulffEE6__halfS0_S0_JPKS0_S2_S2_EEvPKT0_PKT1_PT2_iii15HIP_vector_typeIjLj3EESC_SC_SC_SC_iiiiiiiiiiiDpT3_, .Lfunc_end107-_ZL11k_bin_bcastIXadL_ZL6op_mulffEE6__halfS0_S0_JPKS0_S2_S2_EEvPKT0_PKT1_PT2_iii15HIP_vector_typeIjLj3EESC_SC_SC_SC_iiiiiiiiiiiDpT3_
                                        ; -- End function
	.set _ZL11k_bin_bcastIXadL_ZL6op_mulffEE6__halfS0_S0_JPKS0_S2_S2_EEvPKT0_PKT1_PT2_iii15HIP_vector_typeIjLj3EESC_SC_SC_SC_iiiiiiiiiiiDpT3_.num_vgpr, 17
	.set _ZL11k_bin_bcastIXadL_ZL6op_mulffEE6__halfS0_S0_JPKS0_S2_S2_EEvPKT0_PKT1_PT2_iii15HIP_vector_typeIjLj3EESC_SC_SC_SC_iiiiiiiiiiiDpT3_.num_agpr, 0
	.set _ZL11k_bin_bcastIXadL_ZL6op_mulffEE6__halfS0_S0_JPKS0_S2_S2_EEvPKT0_PKT1_PT2_iii15HIP_vector_typeIjLj3EESC_SC_SC_SC_iiiiiiiiiiiDpT3_.numbered_sgpr, 52
	.set _ZL11k_bin_bcastIXadL_ZL6op_mulffEE6__halfS0_S0_JPKS0_S2_S2_EEvPKT0_PKT1_PT2_iii15HIP_vector_typeIjLj3EESC_SC_SC_SC_iiiiiiiiiiiDpT3_.num_named_barrier, 0
	.set _ZL11k_bin_bcastIXadL_ZL6op_mulffEE6__halfS0_S0_JPKS0_S2_S2_EEvPKT0_PKT1_PT2_iii15HIP_vector_typeIjLj3EESC_SC_SC_SC_iiiiiiiiiiiDpT3_.private_seg_size, 0
	.set _ZL11k_bin_bcastIXadL_ZL6op_mulffEE6__halfS0_S0_JPKS0_S2_S2_EEvPKT0_PKT1_PT2_iii15HIP_vector_typeIjLj3EESC_SC_SC_SC_iiiiiiiiiiiDpT3_.uses_vcc, 1
	.set _ZL11k_bin_bcastIXadL_ZL6op_mulffEE6__halfS0_S0_JPKS0_S2_S2_EEvPKT0_PKT1_PT2_iii15HIP_vector_typeIjLj3EESC_SC_SC_SC_iiiiiiiiiiiDpT3_.uses_flat_scratch, 0
	.set _ZL11k_bin_bcastIXadL_ZL6op_mulffEE6__halfS0_S0_JPKS0_S2_S2_EEvPKT0_PKT1_PT2_iii15HIP_vector_typeIjLj3EESC_SC_SC_SC_iiiiiiiiiiiDpT3_.has_dyn_sized_stack, 0
	.set _ZL11k_bin_bcastIXadL_ZL6op_mulffEE6__halfS0_S0_JPKS0_S2_S2_EEvPKT0_PKT1_PT2_iii15HIP_vector_typeIjLj3EESC_SC_SC_SC_iiiiiiiiiiiDpT3_.has_recursion, 0
	.set _ZL11k_bin_bcastIXadL_ZL6op_mulffEE6__halfS0_S0_JPKS0_S2_S2_EEvPKT0_PKT1_PT2_iii15HIP_vector_typeIjLj3EESC_SC_SC_SC_iiiiiiiiiiiDpT3_.has_indirect_call, 0
	.section	.AMDGPU.csdata,"",@progbits
; Kernel info:
; codeLenInByte = 784
; TotalNumSgprs: 56
; NumVgprs: 17
; ScratchSize: 0
; MemoryBound: 0
; FloatMode: 240
; IeeeMode: 1
; LDSByteSize: 0 bytes/workgroup (compile time only)
; SGPRBlocks: 6
; VGPRBlocks: 4
; NumSGPRsForWavesPerEU: 56
; NumVGPRsForWavesPerEU: 17
; Occupancy: 10
; WaveLimiterHint : 1
; COMPUTE_PGM_RSRC2:SCRATCH_EN: 0
; COMPUTE_PGM_RSRC2:USER_SGPR: 6
; COMPUTE_PGM_RSRC2:TRAP_HANDLER: 0
; COMPUTE_PGM_RSRC2:TGID_X_EN: 1
; COMPUTE_PGM_RSRC2:TGID_Y_EN: 1
; COMPUTE_PGM_RSRC2:TGID_Z_EN: 1
; COMPUTE_PGM_RSRC2:TIDIG_COMP_CNT: 2
	.section	.text._ZL19k_bin_bcast_unravelIXadL_ZL6op_mulffEE6__halffS0_JPKfS2_S2_EEvPKT0_PKT1_PT2_15HIP_vector_typeIjLj3EESC_SC_jSC_SC_SC_SC_SC_SC_iiiiiiiiiiiDpT3_,"axG",@progbits,_ZL19k_bin_bcast_unravelIXadL_ZL6op_mulffEE6__halffS0_JPKfS2_S2_EEvPKT0_PKT1_PT2_15HIP_vector_typeIjLj3EESC_SC_jSC_SC_SC_SC_SC_SC_iiiiiiiiiiiDpT3_,comdat
	.globl	_ZL19k_bin_bcast_unravelIXadL_ZL6op_mulffEE6__halffS0_JPKfS2_S2_EEvPKT0_PKT1_PT2_15HIP_vector_typeIjLj3EESC_SC_jSC_SC_SC_SC_SC_SC_iiiiiiiiiiiDpT3_ ; -- Begin function _ZL19k_bin_bcast_unravelIXadL_ZL6op_mulffEE6__halffS0_JPKfS2_S2_EEvPKT0_PKT1_PT2_15HIP_vector_typeIjLj3EESC_SC_jSC_SC_SC_SC_SC_SC_iiiiiiiiiiiDpT3_
	.p2align	8
	.type	_ZL19k_bin_bcast_unravelIXadL_ZL6op_mulffEE6__halffS0_JPKfS2_S2_EEvPKT0_PKT1_PT2_15HIP_vector_typeIjLj3EESC_SC_jSC_SC_SC_SC_SC_SC_iiiiiiiiiiiDpT3_,@function
_ZL19k_bin_bcast_unravelIXadL_ZL6op_mulffEE6__halffS0_JPKfS2_S2_EEvPKT0_PKT1_PT2_15HIP_vector_typeIjLj3EESC_SC_jSC_SC_SC_SC_SC_SC_iiiiiiiiiiiDpT3_: ; @_ZL19k_bin_bcast_unravelIXadL_ZL6op_mulffEE6__halffS0_JPKfS2_S2_EEvPKT0_PKT1_PT2_15HIP_vector_typeIjLj3EESC_SC_jSC_SC_SC_SC_SC_SC_iiiiiiiiiiiDpT3_
; %bb.0:
	s_load_dword s0, s[4:5], 0xdc
	s_load_dwordx8 s[8:15], s[4:5], 0x38
	s_waitcnt lgkmcnt(0)
	s_and_b32 s0, s0, 0xffff
	s_mul_i32 s6, s6, s0
	v_add_u32_e32 v0, s6, v0
	v_mul_hi_u32 v1, v0, s10
	s_load_dwordx4 s[0:3], s[4:5], 0x18
	s_waitcnt lgkmcnt(0)
	s_load_dword s3, s[4:5], 0x2c
	v_add_u32_e32 v1, v0, v1
	v_lshrrev_b32_e32 v1, s11, v1
	v_mul_lo_u32 v2, v1, s12
	v_sub_u32_e32 v0, v0, v2
	v_mul_hi_u32 v2, v0, s13
	v_add_u32_e32 v2, v0, v2
	v_lshrrev_b32_e32 v3, s14, v2
	v_mul_lo_u32 v2, v3, s15
	v_cmp_gt_u32_e32 vcc, s8, v3
	v_sub_u32_e32 v0, v0, v2
	v_mul_hi_u32 v2, v0, s0
	v_add_u32_e32 v2, v0, v2
	v_lshrrev_b32_e32 v4, s1, v2
	v_mul_lo_u32 v2, v4, s2
	s_waitcnt lgkmcnt(0)
	v_cmp_gt_u32_e64 s[0:1], s3, v4
	v_sub_u32_e32 v0, v0, v2
	v_cmp_gt_u32_e64 s[2:3], s2, v0
	s_and_b64 s[0:1], s[2:3], s[0:1]
	s_and_b64 s[0:1], s[0:1], vcc
	v_cmp_gt_u32_e32 vcc, s9, v1
	s_and_b64 s[0:1], vcc, s[0:1]
	s_and_saveexec_b64 s[2:3], s[0:1]
	s_cbranch_execz .LBB108_4
; %bb.1:
	s_load_dwordx2 s[6:7], s[4:5], 0x0
	s_load_dwordx4 s[0:3], s[4:5], 0xa8
	s_load_dwordx8 s[8:15], s[4:5], 0x88
	s_load_dwordx4 s[24:27], s[4:5], 0x78
	s_load_dwordx8 s[16:23], s[4:5], 0x58
	v_mov_b32_e32 v2, 0
	s_waitcnt lgkmcnt(0)
	s_cmp_eq_u64 s[6:7], 0
	v_mov_b32_e32 v5, 0
	s_cbranch_scc1 .LBB108_3
; %bb.2:
	v_mul_lo_u32 v5, v1, s14
	v_mul_lo_u32 v7, v3, s13
	;; [unrolled: 1-line block ×3, first 2 shown]
	v_mov_b32_e32 v6, 0
	v_mov_b32_e32 v9, s7
	v_add3_u32 v5, v7, v5, v8
	v_lshlrev_b64 v[7:8], 1, v[5:6]
	v_mul_lo_u32 v5, v0, s11
	v_add_co_u32_e32 v7, vcc, s6, v7
	v_addc_co_u32_e32 v8, vcc, v9, v8, vcc
	v_lshlrev_b64 v[5:6], 1, v[5:6]
	v_add_co_u32_e32 v5, vcc, v7, v5
	v_addc_co_u32_e32 v6, vcc, v8, v6, vcc
	global_load_ushort v5, v[5:6], off
	s_waitcnt vmcnt(0)
	v_cvt_f32_f16_e32 v5, v5
.LBB108_3:
	v_mul_hi_u32 v6, s19, v4
	v_mul_hi_u32 v7, s22, v3
	;; [unrolled: 1-line block ×4, first 2 shown]
	v_add_u32_e32 v6, v4, v6
	v_add_u32_e32 v7, v3, v7
	;; [unrolled: 1-line block ×3, first 2 shown]
	v_lshrrev_b32_e32 v6, s20, v6
	v_lshrrev_b32_e32 v7, s23, v7
	;; [unrolled: 1-line block ×3, first 2 shown]
	v_mul_lo_u32 v6, v6, s21
	v_mul_lo_u32 v7, v7, s24
	;; [unrolled: 1-line block ×3, first 2 shown]
	v_add_u32_e32 v9, v0, v9
	v_sub_u32_e32 v6, v4, v6
	v_sub_u32_e32 v7, v3, v7
	;; [unrolled: 1-line block ×3, first 2 shown]
	v_lshrrev_b32_e32 v9, s17, v9
	v_mul_lo_u32 v8, v8, s2
	v_mul_lo_u32 v7, v7, s1
	;; [unrolled: 1-line block ×4, first 2 shown]
	s_load_dwordx2 s[6:7], s[4:5], 0xc8
	s_load_dwordx4 s[0:3], s[4:5], 0xb8
	v_mul_lo_u32 v11, v4, s8
	v_add3_u32 v6, v7, v8, v6
	v_sub_u32_e32 v7, v0, v9
	v_mul_lo_u32 v7, v7, s15
	v_ashrrev_i32_e32 v8, 31, v6
	v_ashrrev_i32_e32 v9, 31, v7
	v_add_co_u32_e32 v6, vcc, v7, v6
	v_addc_co_u32_e32 v7, vcc, v9, v8, vcc
	v_lshlrev_b64 v[6:7], 2, v[6:7]
	s_waitcnt lgkmcnt(0)
	v_mov_b32_e32 v9, s1
	v_add_co_u32_e32 v8, vcc, s0, v6
	v_addc_co_u32_e32 v9, vcc, v9, v7, vcc
	global_load_dword v10, v[8:9], off
	v_mov_b32_e32 v9, s3
	v_add_co_u32_e32 v8, vcc, s2, v6
	v_addc_co_u32_e32 v9, vcc, v9, v7, vcc
	global_load_dword v8, v[8:9], off
	;; [unrolled: 4-line block ×3, first 2 shown]
	v_mul_lo_u32 v7, v1, s10
	v_mul_lo_u32 v9, v3, s9
	s_load_dwordx2 s[0:1], s[4:5], 0x10
	v_mov_b32_e32 v1, v2
	v_lshlrev_b64 v[3:4], 1, v[0:1]
	v_add3_u32 v1, v9, v7, v11
	v_lshlrev_b64 v[0:1], 1, v[1:2]
	s_waitcnt lgkmcnt(0)
	v_mov_b32_e32 v2, s1
	v_add_co_u32_e32 v0, vcc, s0, v0
	v_addc_co_u32_e32 v1, vcc, v2, v1, vcc
	v_add_co_u32_e32 v0, vcc, v0, v3
	v_addc_co_u32_e32 v1, vcc, v1, v4, vcc
	s_waitcnt vmcnt(2)
	v_mul_f32_e32 v2, v5, v10
	s_waitcnt vmcnt(1)
	v_mul_f32_e32 v2, v2, v8
	s_waitcnt vmcnt(0)
	v_fma_mixlo_f16 v2, v2, v6, 0
	global_store_short v[0:1], v2, off
.LBB108_4:
	s_endpgm
	.section	.rodata,"a",@progbits
	.p2align	6, 0x0
	.amdhsa_kernel _ZL19k_bin_bcast_unravelIXadL_ZL6op_mulffEE6__halffS0_JPKfS2_S2_EEvPKT0_PKT1_PT2_15HIP_vector_typeIjLj3EESC_SC_jSC_SC_SC_SC_SC_SC_iiiiiiiiiiiDpT3_
		.amdhsa_group_segment_fixed_size 0
		.amdhsa_private_segment_fixed_size 0
		.amdhsa_kernarg_size 464
		.amdhsa_user_sgpr_count 6
		.amdhsa_user_sgpr_private_segment_buffer 1
		.amdhsa_user_sgpr_dispatch_ptr 0
		.amdhsa_user_sgpr_queue_ptr 0
		.amdhsa_user_sgpr_kernarg_segment_ptr 1
		.amdhsa_user_sgpr_dispatch_id 0
		.amdhsa_user_sgpr_flat_scratch_init 0
		.amdhsa_user_sgpr_private_segment_size 0
		.amdhsa_uses_dynamic_stack 0
		.amdhsa_system_sgpr_private_segment_wavefront_offset 0
		.amdhsa_system_sgpr_workgroup_id_x 1
		.amdhsa_system_sgpr_workgroup_id_y 0
		.amdhsa_system_sgpr_workgroup_id_z 0
		.amdhsa_system_sgpr_workgroup_info 0
		.amdhsa_system_vgpr_workitem_id 0
		.amdhsa_next_free_vgpr 12
		.amdhsa_next_free_sgpr 28
		.amdhsa_reserve_vcc 1
		.amdhsa_reserve_flat_scratch 0
		.amdhsa_float_round_mode_32 0
		.amdhsa_float_round_mode_16_64 0
		.amdhsa_float_denorm_mode_32 3
		.amdhsa_float_denorm_mode_16_64 3
		.amdhsa_dx10_clamp 1
		.amdhsa_ieee_mode 1
		.amdhsa_fp16_overflow 0
		.amdhsa_exception_fp_ieee_invalid_op 0
		.amdhsa_exception_fp_denorm_src 0
		.amdhsa_exception_fp_ieee_div_zero 0
		.amdhsa_exception_fp_ieee_overflow 0
		.amdhsa_exception_fp_ieee_underflow 0
		.amdhsa_exception_fp_ieee_inexact 0
		.amdhsa_exception_int_div_zero 0
	.end_amdhsa_kernel
	.section	.text._ZL19k_bin_bcast_unravelIXadL_ZL6op_mulffEE6__halffS0_JPKfS2_S2_EEvPKT0_PKT1_PT2_15HIP_vector_typeIjLj3EESC_SC_jSC_SC_SC_SC_SC_SC_iiiiiiiiiiiDpT3_,"axG",@progbits,_ZL19k_bin_bcast_unravelIXadL_ZL6op_mulffEE6__halffS0_JPKfS2_S2_EEvPKT0_PKT1_PT2_15HIP_vector_typeIjLj3EESC_SC_jSC_SC_SC_SC_SC_SC_iiiiiiiiiiiDpT3_,comdat
.Lfunc_end108:
	.size	_ZL19k_bin_bcast_unravelIXadL_ZL6op_mulffEE6__halffS0_JPKfS2_S2_EEvPKT0_PKT1_PT2_15HIP_vector_typeIjLj3EESC_SC_jSC_SC_SC_SC_SC_SC_iiiiiiiiiiiDpT3_, .Lfunc_end108-_ZL19k_bin_bcast_unravelIXadL_ZL6op_mulffEE6__halffS0_JPKfS2_S2_EEvPKT0_PKT1_PT2_15HIP_vector_typeIjLj3EESC_SC_jSC_SC_SC_SC_SC_SC_iiiiiiiiiiiDpT3_
                                        ; -- End function
	.set _ZL19k_bin_bcast_unravelIXadL_ZL6op_mulffEE6__halffS0_JPKfS2_S2_EEvPKT0_PKT1_PT2_15HIP_vector_typeIjLj3EESC_SC_jSC_SC_SC_SC_SC_SC_iiiiiiiiiiiDpT3_.num_vgpr, 12
	.set _ZL19k_bin_bcast_unravelIXadL_ZL6op_mulffEE6__halffS0_JPKfS2_S2_EEvPKT0_PKT1_PT2_15HIP_vector_typeIjLj3EESC_SC_jSC_SC_SC_SC_SC_SC_iiiiiiiiiiiDpT3_.num_agpr, 0
	.set _ZL19k_bin_bcast_unravelIXadL_ZL6op_mulffEE6__halffS0_JPKfS2_S2_EEvPKT0_PKT1_PT2_15HIP_vector_typeIjLj3EESC_SC_jSC_SC_SC_SC_SC_SC_iiiiiiiiiiiDpT3_.numbered_sgpr, 28
	.set _ZL19k_bin_bcast_unravelIXadL_ZL6op_mulffEE6__halffS0_JPKfS2_S2_EEvPKT0_PKT1_PT2_15HIP_vector_typeIjLj3EESC_SC_jSC_SC_SC_SC_SC_SC_iiiiiiiiiiiDpT3_.num_named_barrier, 0
	.set _ZL19k_bin_bcast_unravelIXadL_ZL6op_mulffEE6__halffS0_JPKfS2_S2_EEvPKT0_PKT1_PT2_15HIP_vector_typeIjLj3EESC_SC_jSC_SC_SC_SC_SC_SC_iiiiiiiiiiiDpT3_.private_seg_size, 0
	.set _ZL19k_bin_bcast_unravelIXadL_ZL6op_mulffEE6__halffS0_JPKfS2_S2_EEvPKT0_PKT1_PT2_15HIP_vector_typeIjLj3EESC_SC_jSC_SC_SC_SC_SC_SC_iiiiiiiiiiiDpT3_.uses_vcc, 1
	.set _ZL19k_bin_bcast_unravelIXadL_ZL6op_mulffEE6__halffS0_JPKfS2_S2_EEvPKT0_PKT1_PT2_15HIP_vector_typeIjLj3EESC_SC_jSC_SC_SC_SC_SC_SC_iiiiiiiiiiiDpT3_.uses_flat_scratch, 0
	.set _ZL19k_bin_bcast_unravelIXadL_ZL6op_mulffEE6__halffS0_JPKfS2_S2_EEvPKT0_PKT1_PT2_15HIP_vector_typeIjLj3EESC_SC_jSC_SC_SC_SC_SC_SC_iiiiiiiiiiiDpT3_.has_dyn_sized_stack, 0
	.set _ZL19k_bin_bcast_unravelIXadL_ZL6op_mulffEE6__halffS0_JPKfS2_S2_EEvPKT0_PKT1_PT2_15HIP_vector_typeIjLj3EESC_SC_jSC_SC_SC_SC_SC_SC_iiiiiiiiiiiDpT3_.has_recursion, 0
	.set _ZL19k_bin_bcast_unravelIXadL_ZL6op_mulffEE6__halffS0_JPKfS2_S2_EEvPKT0_PKT1_PT2_15HIP_vector_typeIjLj3EESC_SC_jSC_SC_SC_SC_SC_SC_iiiiiiiiiiiDpT3_.has_indirect_call, 0
	.section	.AMDGPU.csdata,"",@progbits
; Kernel info:
; codeLenInByte = 724
; TotalNumSgprs: 32
; NumVgprs: 12
; ScratchSize: 0
; MemoryBound: 0
; FloatMode: 240
; IeeeMode: 1
; LDSByteSize: 0 bytes/workgroup (compile time only)
; SGPRBlocks: 3
; VGPRBlocks: 2
; NumSGPRsForWavesPerEU: 32
; NumVGPRsForWavesPerEU: 12
; Occupancy: 10
; WaveLimiterHint : 1
; COMPUTE_PGM_RSRC2:SCRATCH_EN: 0
; COMPUTE_PGM_RSRC2:USER_SGPR: 6
; COMPUTE_PGM_RSRC2:TRAP_HANDLER: 0
; COMPUTE_PGM_RSRC2:TGID_X_EN: 1
; COMPUTE_PGM_RSRC2:TGID_Y_EN: 0
; COMPUTE_PGM_RSRC2:TGID_Z_EN: 0
; COMPUTE_PGM_RSRC2:TIDIG_COMP_CNT: 0
	.section	.text._ZL11k_bin_bcastIXadL_ZL6op_mulffEE6__halffS0_JPKfS2_S2_EEvPKT0_PKT1_PT2_iii15HIP_vector_typeIjLj3EESC_SC_SC_SC_iiiiiiiiiiiDpT3_,"axG",@progbits,_ZL11k_bin_bcastIXadL_ZL6op_mulffEE6__halffS0_JPKfS2_S2_EEvPKT0_PKT1_PT2_iii15HIP_vector_typeIjLj3EESC_SC_SC_SC_iiiiiiiiiiiDpT3_,comdat
	.globl	_ZL11k_bin_bcastIXadL_ZL6op_mulffEE6__halffS0_JPKfS2_S2_EEvPKT0_PKT1_PT2_iii15HIP_vector_typeIjLj3EESC_SC_SC_SC_iiiiiiiiiiiDpT3_ ; -- Begin function _ZL11k_bin_bcastIXadL_ZL6op_mulffEE6__halffS0_JPKfS2_S2_EEvPKT0_PKT1_PT2_iii15HIP_vector_typeIjLj3EESC_SC_SC_SC_iiiiiiiiiiiDpT3_
	.p2align	8
	.type	_ZL11k_bin_bcastIXadL_ZL6op_mulffEE6__halffS0_JPKfS2_S2_EEvPKT0_PKT1_PT2_iii15HIP_vector_typeIjLj3EESC_SC_SC_SC_iiiiiiiiiiiDpT3_,@function
_ZL11k_bin_bcastIXadL_ZL6op_mulffEE6__halffS0_JPKfS2_S2_EEvPKT0_PKT1_PT2_iii15HIP_vector_typeIjLj3EESC_SC_SC_SC_iiiiiiiiiiiDpT3_: ; @_ZL11k_bin_bcastIXadL_ZL6op_mulffEE6__halffS0_JPKfS2_S2_EEvPKT0_PKT1_PT2_iii15HIP_vector_typeIjLj3EESC_SC_SC_SC_iiiiiiiiiiiDpT3_
; %bb.0:
	s_load_dwordx2 s[0:1], s[4:5], 0xb4
	s_load_dwordx8 s[12:19], s[4:5], 0x18
	s_add_u32 s2, s4, 0xa8
	s_addc_u32 s3, s5, 0
	s_waitcnt lgkmcnt(0)
	s_and_b32 s1, s1, 0xffff
	s_mul_i32 s8, s8, s1
	v_add_u32_e32 v3, s8, v2
	v_mul_hi_u32 v2, v3, s15
	s_lshr_b32 s1, s0, 16
	s_and_b32 s8, s0, 0xffff
	s_mul_i32 s6, s6, s8
	v_add_u32_e32 v2, v3, v2
	v_lshrrev_b32_e32 v2, s16, v2
	v_mul_lo_u32 v4, v2, s17
	s_mul_i32 s7, s7, s1
	v_add_u32_e32 v0, s6, v0
	v_add_u32_e32 v1, s7, v1
	v_cmp_gt_u32_e32 vcc, s12, v0
	v_cmp_gt_u32_e64 s[0:1], s13, v1
	v_sub_u32_e32 v3, v3, v4
	s_and_b64 s[0:1], vcc, s[0:1]
	v_cmp_gt_u32_e32 vcc, s14, v2
	s_and_b64 s[0:1], s[0:1], vcc
	v_cmp_gt_u32_e32 vcc, s17, v3
	s_and_b64 s[0:1], s[0:1], vcc
	s_and_saveexec_b64 s[6:7], s[0:1]
	s_cbranch_execz .LBB109_6
; %bb.1:
	v_cmp_gt_i32_e32 vcc, s12, v0
	s_and_b64 exec, exec, vcc
	s_cbranch_execz .LBB109_6
; %bb.2:
	s_load_dwordx8 s[44:51], s[4:5], 0x3c
	s_load_dwordx8 s[20:27], s[4:5], 0x60
	;; [unrolled: 1-line block ×3, first 2 shown]
	s_load_dword s9, s[2:3], 0x0
	s_load_dword s0, s[4:5], 0x5c
	s_waitcnt lgkmcnt(0)
	v_mul_hi_u32 v4, s44, v1
	v_mul_hi_u32 v5, s47, v2
	;; [unrolled: 1-line block ×3, first 2 shown]
	v_mul_lo_u32 v7, v3, s26
	v_add_u32_e32 v4, v1, v4
	v_add_u32_e32 v5, v2, v5
	;; [unrolled: 1-line block ×3, first 2 shown]
	v_lshrrev_b32_e32 v4, s45, v4
	v_lshrrev_b32_e32 v5, s48, v5
	v_lshrrev_b32_e32 v6, s51, v6
	v_mul_lo_u32 v4, v4, s46
	v_mul_lo_u32 v5, v5, s49
	;; [unrolled: 1-line block ×5, first 2 shown]
	v_sub_u32_e32 v4, v1, v4
	v_sub_u32_e32 v5, v2, v5
	;; [unrolled: 1-line block ×3, first 2 shown]
	s_load_dword s10, s[4:5], 0x38
	s_load_dwordx2 s[0:1], s[4:5], 0x0
	s_load_dwordx2 s[2:3], s[4:5], 0x10
	v_mul_lo_u32 v6, v6, s38
	v_mul_lo_u32 v5, v5, s37
	;; [unrolled: 1-line block ×6, first 2 shown]
	v_add3_u32 v1, v8, v9, v7
	v_mov_b32_e32 v2, 0
	v_mov_b32_e32 v8, v2
	v_lshlrev_b64 v[1:2], 1, v[1:2]
	v_add3_u32 v4, v5, v6, v4
	v_add3_u32 v7, v10, v11, v3
	s_waitcnt lgkmcnt(0)
	v_mov_b32_e32 v3, s1
	v_add_co_u32_e32 v5, vcc, s0, v1
	v_addc_co_u32_e32 v6, vcc, v3, v2, vcc
	v_lshlrev_b64 v[1:2], 1, v[7:8]
	s_load_dwordx2 s[4:5], s[4:5], 0xa0
	v_mov_b32_e32 v3, s3
	v_add_co_u32_e32 v7, vcc, s2, v1
	v_addc_co_u32_e32 v8, vcc, v3, v2, vcc
	s_cmp_lg_u64 s[0:1], 0
	v_mul_lo_u32 v2, s23, v0
	s_cselect_b64 s[0:1], -1, 0
	s_mul_i32 s8, s9, s8
	v_cndmask_b32_e64 v1, 0, 1, s[0:1]
	s_mov_b64 s[6:7], 0
	s_mul_i32 s9, s8, s23
	s_sub_i32 s10, 0, s10
	v_cmp_ne_u32_e64 s[0:1], 1, v1
	v_mov_b32_e32 v9, s41
	v_mov_b32_e32 v10, s43
	s_waitcnt lgkmcnt(0)
	v_mov_b32_e32 v11, s5
	s_branch .LBB109_4
.LBB109_3:                              ;   in Loop: Header=BB109_4 Depth=1
	v_mul_hi_u32 v1, s18, v0
	v_add_u32_e32 v2, s9, v2
	v_add_u32_e32 v1, v0, v1
	v_lshrrev_b32_e32 v1, s19, v1
	v_mad_u64_u32 v[12:13], s[2:3], s10, v1, v[0:1]
	v_mul_lo_u32 v1, v12, s27
	v_add_co_u32_e32 v12, vcc, v1, v4
	v_addc_co_u32_e64 v13, s[2:3], 0, 0, vcc
	v_lshlrev_b64 v[12:13], 2, v[12:13]
	v_ashrrev_i32_e32 v1, 31, v0
	v_add_co_u32_e32 v14, vcc, s40, v12
	v_addc_co_u32_e32 v15, vcc, v9, v13, vcc
	global_load_dword v16, v[14:15], off
	v_add_co_u32_e32 v14, vcc, s42, v12
	v_addc_co_u32_e32 v15, vcc, v10, v13, vcc
	v_add_co_u32_e32 v12, vcc, s4, v12
	global_load_dword v14, v[14:15], off
	v_addc_co_u32_e32 v13, vcc, v11, v13, vcc
	global_load_dword v15, v[12:13], off
	v_lshlrev_b64 v[12:13], 1, v[0:1]
	v_add_u32_e32 v0, s8, v0
	v_cmp_le_i32_e32 vcc, s12, v0
	v_add_co_u32_e64 v12, s[2:3], v7, v12
	v_addc_co_u32_e64 v13, s[2:3], v8, v13, s[2:3]
	s_or_b64 s[6:7], vcc, s[6:7]
	s_waitcnt vmcnt(2)
	v_mul_f32_e32 v1, v3, v16
	s_waitcnt vmcnt(1)
	v_mul_f32_e32 v1, v1, v14
	s_waitcnt vmcnt(0)
	v_fma_mixlo_f16 v1, v1, v15, 0
	global_store_short v[12:13], v1, off
	s_andn2_b64 exec, exec, s[6:7]
	s_cbranch_execz .LBB109_6
.LBB109_4:                              ; =>This Inner Loop Header: Depth=1
	s_and_b64 vcc, exec, s[0:1]
	v_mov_b32_e32 v3, 0
	s_cbranch_vccnz .LBB109_3
; %bb.5:                                ;   in Loop: Header=BB109_4 Depth=1
	v_ashrrev_i32_e32 v3, 31, v2
	v_lshlrev_b64 v[12:13], 1, v[2:3]
	v_add_co_u32_e32 v12, vcc, v5, v12
	v_addc_co_u32_e32 v13, vcc, v6, v13, vcc
	global_load_ushort v1, v[12:13], off
	s_waitcnt vmcnt(0)
	v_cvt_f32_f16_e32 v3, v1
	s_branch .LBB109_3
.LBB109_6:
	s_endpgm
	.section	.rodata,"a",@progbits
	.p2align	6, 0x0
	.amdhsa_kernel _ZL11k_bin_bcastIXadL_ZL6op_mulffEE6__halffS0_JPKfS2_S2_EEvPKT0_PKT1_PT2_iii15HIP_vector_typeIjLj3EESC_SC_SC_SC_iiiiiiiiiiiDpT3_
		.amdhsa_group_segment_fixed_size 0
		.amdhsa_private_segment_fixed_size 0
		.amdhsa_kernarg_size 424
		.amdhsa_user_sgpr_count 6
		.amdhsa_user_sgpr_private_segment_buffer 1
		.amdhsa_user_sgpr_dispatch_ptr 0
		.amdhsa_user_sgpr_queue_ptr 0
		.amdhsa_user_sgpr_kernarg_segment_ptr 1
		.amdhsa_user_sgpr_dispatch_id 0
		.amdhsa_user_sgpr_flat_scratch_init 0
		.amdhsa_user_sgpr_private_segment_size 0
		.amdhsa_uses_dynamic_stack 0
		.amdhsa_system_sgpr_private_segment_wavefront_offset 0
		.amdhsa_system_sgpr_workgroup_id_x 1
		.amdhsa_system_sgpr_workgroup_id_y 1
		.amdhsa_system_sgpr_workgroup_id_z 1
		.amdhsa_system_sgpr_workgroup_info 0
		.amdhsa_system_vgpr_workitem_id 2
		.amdhsa_next_free_vgpr 17
		.amdhsa_next_free_sgpr 52
		.amdhsa_reserve_vcc 1
		.amdhsa_reserve_flat_scratch 0
		.amdhsa_float_round_mode_32 0
		.amdhsa_float_round_mode_16_64 0
		.amdhsa_float_denorm_mode_32 3
		.amdhsa_float_denorm_mode_16_64 3
		.amdhsa_dx10_clamp 1
		.amdhsa_ieee_mode 1
		.amdhsa_fp16_overflow 0
		.amdhsa_exception_fp_ieee_invalid_op 0
		.amdhsa_exception_fp_denorm_src 0
		.amdhsa_exception_fp_ieee_div_zero 0
		.amdhsa_exception_fp_ieee_overflow 0
		.amdhsa_exception_fp_ieee_underflow 0
		.amdhsa_exception_fp_ieee_inexact 0
		.amdhsa_exception_int_div_zero 0
	.end_amdhsa_kernel
	.section	.text._ZL11k_bin_bcastIXadL_ZL6op_mulffEE6__halffS0_JPKfS2_S2_EEvPKT0_PKT1_PT2_iii15HIP_vector_typeIjLj3EESC_SC_SC_SC_iiiiiiiiiiiDpT3_,"axG",@progbits,_ZL11k_bin_bcastIXadL_ZL6op_mulffEE6__halffS0_JPKfS2_S2_EEvPKT0_PKT1_PT2_iii15HIP_vector_typeIjLj3EESC_SC_SC_SC_iiiiiiiiiiiDpT3_,comdat
.Lfunc_end109:
	.size	_ZL11k_bin_bcastIXadL_ZL6op_mulffEE6__halffS0_JPKfS2_S2_EEvPKT0_PKT1_PT2_iii15HIP_vector_typeIjLj3EESC_SC_SC_SC_iiiiiiiiiiiDpT3_, .Lfunc_end109-_ZL11k_bin_bcastIXadL_ZL6op_mulffEE6__halffS0_JPKfS2_S2_EEvPKT0_PKT1_PT2_iii15HIP_vector_typeIjLj3EESC_SC_SC_SC_iiiiiiiiiiiDpT3_
                                        ; -- End function
	.set _ZL11k_bin_bcastIXadL_ZL6op_mulffEE6__halffS0_JPKfS2_S2_EEvPKT0_PKT1_PT2_iii15HIP_vector_typeIjLj3EESC_SC_SC_SC_iiiiiiiiiiiDpT3_.num_vgpr, 17
	.set _ZL11k_bin_bcastIXadL_ZL6op_mulffEE6__halffS0_JPKfS2_S2_EEvPKT0_PKT1_PT2_iii15HIP_vector_typeIjLj3EESC_SC_SC_SC_iiiiiiiiiiiDpT3_.num_agpr, 0
	.set _ZL11k_bin_bcastIXadL_ZL6op_mulffEE6__halffS0_JPKfS2_S2_EEvPKT0_PKT1_PT2_iii15HIP_vector_typeIjLj3EESC_SC_SC_SC_iiiiiiiiiiiDpT3_.numbered_sgpr, 52
	.set _ZL11k_bin_bcastIXadL_ZL6op_mulffEE6__halffS0_JPKfS2_S2_EEvPKT0_PKT1_PT2_iii15HIP_vector_typeIjLj3EESC_SC_SC_SC_iiiiiiiiiiiDpT3_.num_named_barrier, 0
	.set _ZL11k_bin_bcastIXadL_ZL6op_mulffEE6__halffS0_JPKfS2_S2_EEvPKT0_PKT1_PT2_iii15HIP_vector_typeIjLj3EESC_SC_SC_SC_iiiiiiiiiiiDpT3_.private_seg_size, 0
	.set _ZL11k_bin_bcastIXadL_ZL6op_mulffEE6__halffS0_JPKfS2_S2_EEvPKT0_PKT1_PT2_iii15HIP_vector_typeIjLj3EESC_SC_SC_SC_iiiiiiiiiiiDpT3_.uses_vcc, 1
	.set _ZL11k_bin_bcastIXadL_ZL6op_mulffEE6__halffS0_JPKfS2_S2_EEvPKT0_PKT1_PT2_iii15HIP_vector_typeIjLj3EESC_SC_SC_SC_iiiiiiiiiiiDpT3_.uses_flat_scratch, 0
	.set _ZL11k_bin_bcastIXadL_ZL6op_mulffEE6__halffS0_JPKfS2_S2_EEvPKT0_PKT1_PT2_iii15HIP_vector_typeIjLj3EESC_SC_SC_SC_iiiiiiiiiiiDpT3_.has_dyn_sized_stack, 0
	.set _ZL11k_bin_bcastIXadL_ZL6op_mulffEE6__halffS0_JPKfS2_S2_EEvPKT0_PKT1_PT2_iii15HIP_vector_typeIjLj3EESC_SC_SC_SC_iiiiiiiiiiiDpT3_.has_recursion, 0
	.set _ZL11k_bin_bcastIXadL_ZL6op_mulffEE6__halffS0_JPKfS2_S2_EEvPKT0_PKT1_PT2_iii15HIP_vector_typeIjLj3EESC_SC_SC_SC_iiiiiiiiiiiDpT3_.has_indirect_call, 0
	.section	.AMDGPU.csdata,"",@progbits
; Kernel info:
; codeLenInByte = 776
; TotalNumSgprs: 56
; NumVgprs: 17
; ScratchSize: 0
; MemoryBound: 0
; FloatMode: 240
; IeeeMode: 1
; LDSByteSize: 0 bytes/workgroup (compile time only)
; SGPRBlocks: 6
; VGPRBlocks: 4
; NumSGPRsForWavesPerEU: 56
; NumVGPRsForWavesPerEU: 17
; Occupancy: 10
; WaveLimiterHint : 1
; COMPUTE_PGM_RSRC2:SCRATCH_EN: 0
; COMPUTE_PGM_RSRC2:USER_SGPR: 6
; COMPUTE_PGM_RSRC2:TRAP_HANDLER: 0
; COMPUTE_PGM_RSRC2:TGID_X_EN: 1
; COMPUTE_PGM_RSRC2:TGID_Y_EN: 1
; COMPUTE_PGM_RSRC2:TGID_Z_EN: 1
; COMPUTE_PGM_RSRC2:TIDIG_COMP_CNT: 2
	.section	.text._ZL19k_bin_bcast_unravelIXadL_ZL6op_mulffEE6__halfffJPKfS2_S2_EEvPKT0_PKT1_PT2_15HIP_vector_typeIjLj3EESC_SC_jSC_SC_SC_SC_SC_SC_iiiiiiiiiiiDpT3_,"axG",@progbits,_ZL19k_bin_bcast_unravelIXadL_ZL6op_mulffEE6__halfffJPKfS2_S2_EEvPKT0_PKT1_PT2_15HIP_vector_typeIjLj3EESC_SC_jSC_SC_SC_SC_SC_SC_iiiiiiiiiiiDpT3_,comdat
	.globl	_ZL19k_bin_bcast_unravelIXadL_ZL6op_mulffEE6__halfffJPKfS2_S2_EEvPKT0_PKT1_PT2_15HIP_vector_typeIjLj3EESC_SC_jSC_SC_SC_SC_SC_SC_iiiiiiiiiiiDpT3_ ; -- Begin function _ZL19k_bin_bcast_unravelIXadL_ZL6op_mulffEE6__halfffJPKfS2_S2_EEvPKT0_PKT1_PT2_15HIP_vector_typeIjLj3EESC_SC_jSC_SC_SC_SC_SC_SC_iiiiiiiiiiiDpT3_
	.p2align	8
	.type	_ZL19k_bin_bcast_unravelIXadL_ZL6op_mulffEE6__halfffJPKfS2_S2_EEvPKT0_PKT1_PT2_15HIP_vector_typeIjLj3EESC_SC_jSC_SC_SC_SC_SC_SC_iiiiiiiiiiiDpT3_,@function
_ZL19k_bin_bcast_unravelIXadL_ZL6op_mulffEE6__halfffJPKfS2_S2_EEvPKT0_PKT1_PT2_15HIP_vector_typeIjLj3EESC_SC_jSC_SC_SC_SC_SC_SC_iiiiiiiiiiiDpT3_: ; @_ZL19k_bin_bcast_unravelIXadL_ZL6op_mulffEE6__halfffJPKfS2_S2_EEvPKT0_PKT1_PT2_15HIP_vector_typeIjLj3EESC_SC_jSC_SC_SC_SC_SC_SC_iiiiiiiiiiiDpT3_
; %bb.0:
	s_load_dword s0, s[4:5], 0xdc
	s_load_dwordx8 s[8:15], s[4:5], 0x38
	s_waitcnt lgkmcnt(0)
	s_and_b32 s0, s0, 0xffff
	s_mul_i32 s6, s6, s0
	v_add_u32_e32 v0, s6, v0
	v_mul_hi_u32 v1, v0, s10
	s_load_dwordx4 s[0:3], s[4:5], 0x18
	s_waitcnt lgkmcnt(0)
	s_load_dword s3, s[4:5], 0x2c
	v_add_u32_e32 v1, v0, v1
	v_lshrrev_b32_e32 v1, s11, v1
	v_mul_lo_u32 v2, v1, s12
	v_sub_u32_e32 v0, v0, v2
	v_mul_hi_u32 v2, v0, s13
	v_add_u32_e32 v2, v0, v2
	v_lshrrev_b32_e32 v3, s14, v2
	v_mul_lo_u32 v2, v3, s15
	v_cmp_gt_u32_e32 vcc, s8, v3
	v_sub_u32_e32 v0, v0, v2
	v_mul_hi_u32 v2, v0, s0
	v_add_u32_e32 v2, v0, v2
	v_lshrrev_b32_e32 v4, s1, v2
	v_mul_lo_u32 v2, v4, s2
	s_waitcnt lgkmcnt(0)
	v_cmp_gt_u32_e64 s[0:1], s3, v4
	v_sub_u32_e32 v0, v0, v2
	v_cmp_gt_u32_e64 s[2:3], s2, v0
	s_and_b64 s[0:1], s[2:3], s[0:1]
	s_and_b64 s[0:1], s[0:1], vcc
	v_cmp_gt_u32_e32 vcc, s9, v1
	s_and_b64 s[0:1], vcc, s[0:1]
	s_and_saveexec_b64 s[2:3], s[0:1]
	s_cbranch_execz .LBB110_4
; %bb.1:
	s_load_dwordx2 s[6:7], s[4:5], 0x0
	s_load_dwordx4 s[0:3], s[4:5], 0xa8
	s_load_dwordx8 s[8:15], s[4:5], 0x88
	s_load_dwordx4 s[24:27], s[4:5], 0x78
	s_load_dwordx8 s[16:23], s[4:5], 0x58
	v_mov_b32_e32 v2, 0
	s_waitcnt lgkmcnt(0)
	s_cmp_eq_u64 s[6:7], 0
	v_mov_b32_e32 v5, 0
	s_cbranch_scc1 .LBB110_3
; %bb.2:
	v_mul_lo_u32 v5, v1, s14
	v_mul_lo_u32 v7, v3, s13
	;; [unrolled: 1-line block ×3, first 2 shown]
	v_mov_b32_e32 v6, 0
	v_mov_b32_e32 v9, s7
	v_add3_u32 v5, v7, v5, v8
	v_lshlrev_b64 v[7:8], 1, v[5:6]
	v_mul_lo_u32 v5, v0, s11
	v_add_co_u32_e32 v7, vcc, s6, v7
	v_addc_co_u32_e32 v8, vcc, v9, v8, vcc
	v_lshlrev_b64 v[5:6], 1, v[5:6]
	v_add_co_u32_e32 v5, vcc, v7, v5
	v_addc_co_u32_e32 v6, vcc, v8, v6, vcc
	global_load_ushort v5, v[5:6], off
	s_waitcnt vmcnt(0)
	v_cvt_f32_f16_e32 v5, v5
.LBB110_3:
	v_mul_hi_u32 v6, s19, v4
	v_mul_hi_u32 v7, s22, v3
	;; [unrolled: 1-line block ×4, first 2 shown]
	v_add_u32_e32 v6, v4, v6
	v_add_u32_e32 v7, v3, v7
	;; [unrolled: 1-line block ×3, first 2 shown]
	v_lshrrev_b32_e32 v6, s20, v6
	v_lshrrev_b32_e32 v7, s23, v7
	;; [unrolled: 1-line block ×3, first 2 shown]
	v_mul_lo_u32 v6, v6, s21
	v_mul_lo_u32 v7, v7, s24
	;; [unrolled: 1-line block ×3, first 2 shown]
	v_add_u32_e32 v9, v0, v9
	v_sub_u32_e32 v6, v4, v6
	v_sub_u32_e32 v7, v3, v7
	v_sub_u32_e32 v8, v1, v8
	v_lshrrev_b32_e32 v9, s17, v9
	v_mul_lo_u32 v8, v8, s2
	v_mul_lo_u32 v7, v7, s1
	;; [unrolled: 1-line block ×4, first 2 shown]
	s_load_dwordx2 s[6:7], s[4:5], 0xc8
	s_load_dwordx4 s[0:3], s[4:5], 0xb8
	v_mul_lo_u32 v11, v4, s8
	v_add3_u32 v6, v7, v8, v6
	v_sub_u32_e32 v7, v0, v9
	v_mul_lo_u32 v7, v7, s15
	v_ashrrev_i32_e32 v8, 31, v6
	v_ashrrev_i32_e32 v9, 31, v7
	v_add_co_u32_e32 v6, vcc, v7, v6
	v_addc_co_u32_e32 v7, vcc, v9, v8, vcc
	v_lshlrev_b64 v[6:7], 2, v[6:7]
	s_waitcnt lgkmcnt(0)
	v_mov_b32_e32 v9, s1
	v_add_co_u32_e32 v8, vcc, s0, v6
	v_addc_co_u32_e32 v9, vcc, v9, v7, vcc
	global_load_dword v10, v[8:9], off
	v_mov_b32_e32 v9, s3
	v_add_co_u32_e32 v8, vcc, s2, v6
	v_addc_co_u32_e32 v9, vcc, v9, v7, vcc
	global_load_dword v8, v[8:9], off
	;; [unrolled: 4-line block ×3, first 2 shown]
	v_mul_lo_u32 v7, v1, s10
	v_mul_lo_u32 v9, v3, s9
	s_load_dwordx2 s[0:1], s[4:5], 0x10
	v_mov_b32_e32 v1, v2
	v_lshlrev_b64 v[3:4], 2, v[0:1]
	v_add3_u32 v1, v9, v7, v11
	v_lshlrev_b64 v[0:1], 2, v[1:2]
	s_waitcnt lgkmcnt(0)
	v_mov_b32_e32 v2, s1
	v_add_co_u32_e32 v0, vcc, s0, v0
	v_addc_co_u32_e32 v1, vcc, v2, v1, vcc
	v_add_co_u32_e32 v0, vcc, v0, v3
	v_addc_co_u32_e32 v1, vcc, v1, v4, vcc
	s_waitcnt vmcnt(2)
	v_mul_f32_e32 v2, v5, v10
	s_waitcnt vmcnt(1)
	v_mul_f32_e32 v2, v2, v8
	;; [unrolled: 2-line block ×3, first 2 shown]
	global_store_dword v[0:1], v2, off
.LBB110_4:
	s_endpgm
	.section	.rodata,"a",@progbits
	.p2align	6, 0x0
	.amdhsa_kernel _ZL19k_bin_bcast_unravelIXadL_ZL6op_mulffEE6__halfffJPKfS2_S2_EEvPKT0_PKT1_PT2_15HIP_vector_typeIjLj3EESC_SC_jSC_SC_SC_SC_SC_SC_iiiiiiiiiiiDpT3_
		.amdhsa_group_segment_fixed_size 0
		.amdhsa_private_segment_fixed_size 0
		.amdhsa_kernarg_size 464
		.amdhsa_user_sgpr_count 6
		.amdhsa_user_sgpr_private_segment_buffer 1
		.amdhsa_user_sgpr_dispatch_ptr 0
		.amdhsa_user_sgpr_queue_ptr 0
		.amdhsa_user_sgpr_kernarg_segment_ptr 1
		.amdhsa_user_sgpr_dispatch_id 0
		.amdhsa_user_sgpr_flat_scratch_init 0
		.amdhsa_user_sgpr_private_segment_size 0
		.amdhsa_uses_dynamic_stack 0
		.amdhsa_system_sgpr_private_segment_wavefront_offset 0
		.amdhsa_system_sgpr_workgroup_id_x 1
		.amdhsa_system_sgpr_workgroup_id_y 0
		.amdhsa_system_sgpr_workgroup_id_z 0
		.amdhsa_system_sgpr_workgroup_info 0
		.amdhsa_system_vgpr_workitem_id 0
		.amdhsa_next_free_vgpr 12
		.amdhsa_next_free_sgpr 28
		.amdhsa_reserve_vcc 1
		.amdhsa_reserve_flat_scratch 0
		.amdhsa_float_round_mode_32 0
		.amdhsa_float_round_mode_16_64 0
		.amdhsa_float_denorm_mode_32 3
		.amdhsa_float_denorm_mode_16_64 3
		.amdhsa_dx10_clamp 1
		.amdhsa_ieee_mode 1
		.amdhsa_fp16_overflow 0
		.amdhsa_exception_fp_ieee_invalid_op 0
		.amdhsa_exception_fp_denorm_src 0
		.amdhsa_exception_fp_ieee_div_zero 0
		.amdhsa_exception_fp_ieee_overflow 0
		.amdhsa_exception_fp_ieee_underflow 0
		.amdhsa_exception_fp_ieee_inexact 0
		.amdhsa_exception_int_div_zero 0
	.end_amdhsa_kernel
	.section	.text._ZL19k_bin_bcast_unravelIXadL_ZL6op_mulffEE6__halfffJPKfS2_S2_EEvPKT0_PKT1_PT2_15HIP_vector_typeIjLj3EESC_SC_jSC_SC_SC_SC_SC_SC_iiiiiiiiiiiDpT3_,"axG",@progbits,_ZL19k_bin_bcast_unravelIXadL_ZL6op_mulffEE6__halfffJPKfS2_S2_EEvPKT0_PKT1_PT2_15HIP_vector_typeIjLj3EESC_SC_jSC_SC_SC_SC_SC_SC_iiiiiiiiiiiDpT3_,comdat
.Lfunc_end110:
	.size	_ZL19k_bin_bcast_unravelIXadL_ZL6op_mulffEE6__halfffJPKfS2_S2_EEvPKT0_PKT1_PT2_15HIP_vector_typeIjLj3EESC_SC_jSC_SC_SC_SC_SC_SC_iiiiiiiiiiiDpT3_, .Lfunc_end110-_ZL19k_bin_bcast_unravelIXadL_ZL6op_mulffEE6__halfffJPKfS2_S2_EEvPKT0_PKT1_PT2_15HIP_vector_typeIjLj3EESC_SC_jSC_SC_SC_SC_SC_SC_iiiiiiiiiiiDpT3_
                                        ; -- End function
	.set _ZL19k_bin_bcast_unravelIXadL_ZL6op_mulffEE6__halfffJPKfS2_S2_EEvPKT0_PKT1_PT2_15HIP_vector_typeIjLj3EESC_SC_jSC_SC_SC_SC_SC_SC_iiiiiiiiiiiDpT3_.num_vgpr, 12
	.set _ZL19k_bin_bcast_unravelIXadL_ZL6op_mulffEE6__halfffJPKfS2_S2_EEvPKT0_PKT1_PT2_15HIP_vector_typeIjLj3EESC_SC_jSC_SC_SC_SC_SC_SC_iiiiiiiiiiiDpT3_.num_agpr, 0
	.set _ZL19k_bin_bcast_unravelIXadL_ZL6op_mulffEE6__halfffJPKfS2_S2_EEvPKT0_PKT1_PT2_15HIP_vector_typeIjLj3EESC_SC_jSC_SC_SC_SC_SC_SC_iiiiiiiiiiiDpT3_.numbered_sgpr, 28
	.set _ZL19k_bin_bcast_unravelIXadL_ZL6op_mulffEE6__halfffJPKfS2_S2_EEvPKT0_PKT1_PT2_15HIP_vector_typeIjLj3EESC_SC_jSC_SC_SC_SC_SC_SC_iiiiiiiiiiiDpT3_.num_named_barrier, 0
	.set _ZL19k_bin_bcast_unravelIXadL_ZL6op_mulffEE6__halfffJPKfS2_S2_EEvPKT0_PKT1_PT2_15HIP_vector_typeIjLj3EESC_SC_jSC_SC_SC_SC_SC_SC_iiiiiiiiiiiDpT3_.private_seg_size, 0
	.set _ZL19k_bin_bcast_unravelIXadL_ZL6op_mulffEE6__halfffJPKfS2_S2_EEvPKT0_PKT1_PT2_15HIP_vector_typeIjLj3EESC_SC_jSC_SC_SC_SC_SC_SC_iiiiiiiiiiiDpT3_.uses_vcc, 1
	.set _ZL19k_bin_bcast_unravelIXadL_ZL6op_mulffEE6__halfffJPKfS2_S2_EEvPKT0_PKT1_PT2_15HIP_vector_typeIjLj3EESC_SC_jSC_SC_SC_SC_SC_SC_iiiiiiiiiiiDpT3_.uses_flat_scratch, 0
	.set _ZL19k_bin_bcast_unravelIXadL_ZL6op_mulffEE6__halfffJPKfS2_S2_EEvPKT0_PKT1_PT2_15HIP_vector_typeIjLj3EESC_SC_jSC_SC_SC_SC_SC_SC_iiiiiiiiiiiDpT3_.has_dyn_sized_stack, 0
	.set _ZL19k_bin_bcast_unravelIXadL_ZL6op_mulffEE6__halfffJPKfS2_S2_EEvPKT0_PKT1_PT2_15HIP_vector_typeIjLj3EESC_SC_jSC_SC_SC_SC_SC_SC_iiiiiiiiiiiDpT3_.has_recursion, 0
	.set _ZL19k_bin_bcast_unravelIXadL_ZL6op_mulffEE6__halfffJPKfS2_S2_EEvPKT0_PKT1_PT2_15HIP_vector_typeIjLj3EESC_SC_jSC_SC_SC_SC_SC_SC_iiiiiiiiiiiDpT3_.has_indirect_call, 0
	.section	.AMDGPU.csdata,"",@progbits
; Kernel info:
; codeLenInByte = 720
; TotalNumSgprs: 32
; NumVgprs: 12
; ScratchSize: 0
; MemoryBound: 0
; FloatMode: 240
; IeeeMode: 1
; LDSByteSize: 0 bytes/workgroup (compile time only)
; SGPRBlocks: 3
; VGPRBlocks: 2
; NumSGPRsForWavesPerEU: 32
; NumVGPRsForWavesPerEU: 12
; Occupancy: 10
; WaveLimiterHint : 1
; COMPUTE_PGM_RSRC2:SCRATCH_EN: 0
; COMPUTE_PGM_RSRC2:USER_SGPR: 6
; COMPUTE_PGM_RSRC2:TRAP_HANDLER: 0
; COMPUTE_PGM_RSRC2:TGID_X_EN: 1
; COMPUTE_PGM_RSRC2:TGID_Y_EN: 0
; COMPUTE_PGM_RSRC2:TGID_Z_EN: 0
; COMPUTE_PGM_RSRC2:TIDIG_COMP_CNT: 0
	.section	.text._ZL11k_bin_bcastIXadL_ZL6op_mulffEE6__halfffJPKfS2_S2_EEvPKT0_PKT1_PT2_iii15HIP_vector_typeIjLj3EESC_SC_SC_SC_iiiiiiiiiiiDpT3_,"axG",@progbits,_ZL11k_bin_bcastIXadL_ZL6op_mulffEE6__halfffJPKfS2_S2_EEvPKT0_PKT1_PT2_iii15HIP_vector_typeIjLj3EESC_SC_SC_SC_iiiiiiiiiiiDpT3_,comdat
	.globl	_ZL11k_bin_bcastIXadL_ZL6op_mulffEE6__halfffJPKfS2_S2_EEvPKT0_PKT1_PT2_iii15HIP_vector_typeIjLj3EESC_SC_SC_SC_iiiiiiiiiiiDpT3_ ; -- Begin function _ZL11k_bin_bcastIXadL_ZL6op_mulffEE6__halfffJPKfS2_S2_EEvPKT0_PKT1_PT2_iii15HIP_vector_typeIjLj3EESC_SC_SC_SC_iiiiiiiiiiiDpT3_
	.p2align	8
	.type	_ZL11k_bin_bcastIXadL_ZL6op_mulffEE6__halfffJPKfS2_S2_EEvPKT0_PKT1_PT2_iii15HIP_vector_typeIjLj3EESC_SC_SC_SC_iiiiiiiiiiiDpT3_,@function
_ZL11k_bin_bcastIXadL_ZL6op_mulffEE6__halfffJPKfS2_S2_EEvPKT0_PKT1_PT2_iii15HIP_vector_typeIjLj3EESC_SC_SC_SC_iiiiiiiiiiiDpT3_: ; @_ZL11k_bin_bcastIXadL_ZL6op_mulffEE6__halfffJPKfS2_S2_EEvPKT0_PKT1_PT2_iii15HIP_vector_typeIjLj3EESC_SC_SC_SC_iiiiiiiiiiiDpT3_
; %bb.0:
	s_load_dwordx2 s[0:1], s[4:5], 0xb4
	s_load_dwordx8 s[12:19], s[4:5], 0x18
	s_add_u32 s2, s4, 0xa8
	s_addc_u32 s3, s5, 0
	s_waitcnt lgkmcnt(0)
	s_and_b32 s1, s1, 0xffff
	s_mul_i32 s8, s8, s1
	v_add_u32_e32 v3, s8, v2
	v_mul_hi_u32 v2, v3, s15
	s_lshr_b32 s1, s0, 16
	s_and_b32 s8, s0, 0xffff
	s_mul_i32 s6, s6, s8
	v_add_u32_e32 v2, v3, v2
	v_lshrrev_b32_e32 v2, s16, v2
	v_mul_lo_u32 v4, v2, s17
	s_mul_i32 s7, s7, s1
	v_add_u32_e32 v0, s6, v0
	v_add_u32_e32 v1, s7, v1
	v_cmp_gt_u32_e32 vcc, s12, v0
	v_cmp_gt_u32_e64 s[0:1], s13, v1
	v_sub_u32_e32 v3, v3, v4
	s_and_b64 s[0:1], vcc, s[0:1]
	v_cmp_gt_u32_e32 vcc, s14, v2
	s_and_b64 s[0:1], s[0:1], vcc
	v_cmp_gt_u32_e32 vcc, s17, v3
	s_and_b64 s[0:1], s[0:1], vcc
	s_and_saveexec_b64 s[6:7], s[0:1]
	s_cbranch_execz .LBB111_6
; %bb.1:
	v_cmp_gt_i32_e32 vcc, s12, v0
	s_and_b64 exec, exec, vcc
	s_cbranch_execz .LBB111_6
; %bb.2:
	s_load_dwordx8 s[44:51], s[4:5], 0x3c
	s_load_dwordx8 s[20:27], s[4:5], 0x60
	;; [unrolled: 1-line block ×3, first 2 shown]
	s_load_dword s9, s[2:3], 0x0
	s_load_dword s0, s[4:5], 0x5c
	s_waitcnt lgkmcnt(0)
	v_mul_hi_u32 v4, s44, v1
	v_mul_hi_u32 v5, s47, v2
	;; [unrolled: 1-line block ×3, first 2 shown]
	v_mul_lo_u32 v7, v3, s26
	v_add_u32_e32 v4, v1, v4
	v_add_u32_e32 v5, v2, v5
	;; [unrolled: 1-line block ×3, first 2 shown]
	v_lshrrev_b32_e32 v4, s45, v4
	v_lshrrev_b32_e32 v5, s48, v5
	;; [unrolled: 1-line block ×3, first 2 shown]
	v_mul_lo_u32 v4, v4, s46
	v_mul_lo_u32 v5, v5, s49
	;; [unrolled: 1-line block ×5, first 2 shown]
	v_sub_u32_e32 v4, v1, v4
	v_sub_u32_e32 v5, v2, v5
	;; [unrolled: 1-line block ×3, first 2 shown]
	s_load_dword s10, s[4:5], 0x38
	s_load_dwordx2 s[0:1], s[4:5], 0x0
	s_load_dwordx2 s[2:3], s[4:5], 0x10
	v_mul_lo_u32 v6, v6, s38
	v_mul_lo_u32 v5, v5, s37
	;; [unrolled: 1-line block ×6, first 2 shown]
	v_add3_u32 v1, v8, v9, v7
	v_mov_b32_e32 v2, 0
	v_mov_b32_e32 v8, v2
	v_lshlrev_b64 v[1:2], 1, v[1:2]
	v_add3_u32 v4, v5, v6, v4
	v_add3_u32 v7, v10, v11, v3
	s_waitcnt lgkmcnt(0)
	v_mov_b32_e32 v3, s1
	v_add_co_u32_e32 v5, vcc, s0, v1
	v_addc_co_u32_e32 v6, vcc, v3, v2, vcc
	v_lshlrev_b64 v[1:2], 2, v[7:8]
	s_load_dwordx2 s[4:5], s[4:5], 0xa0
	v_mov_b32_e32 v3, s3
	v_add_co_u32_e32 v7, vcc, s2, v1
	v_addc_co_u32_e32 v8, vcc, v3, v2, vcc
	s_cmp_lg_u64 s[0:1], 0
	v_mul_lo_u32 v2, s23, v0
	s_cselect_b64 s[0:1], -1, 0
	s_mul_i32 s8, s9, s8
	v_cndmask_b32_e64 v1, 0, 1, s[0:1]
	s_mov_b64 s[6:7], 0
	s_mul_i32 s9, s8, s23
	s_sub_i32 s10, 0, s10
	v_cmp_ne_u32_e64 s[0:1], 1, v1
	v_mov_b32_e32 v9, s41
	v_mov_b32_e32 v10, s43
	s_waitcnt lgkmcnt(0)
	v_mov_b32_e32 v11, s5
	s_branch .LBB111_4
.LBB111_3:                              ;   in Loop: Header=BB111_4 Depth=1
	v_mul_hi_u32 v1, s18, v0
	v_add_u32_e32 v2, s9, v2
	v_add_u32_e32 v1, v0, v1
	v_lshrrev_b32_e32 v1, s19, v1
	v_mad_u64_u32 v[12:13], s[2:3], s10, v1, v[0:1]
	v_mul_lo_u32 v1, v12, s27
	v_add_co_u32_e32 v12, vcc, v1, v4
	v_addc_co_u32_e64 v13, s[2:3], 0, 0, vcc
	v_lshlrev_b64 v[12:13], 2, v[12:13]
	v_ashrrev_i32_e32 v1, 31, v0
	v_add_co_u32_e32 v14, vcc, s40, v12
	v_addc_co_u32_e32 v15, vcc, v9, v13, vcc
	global_load_dword v16, v[14:15], off
	v_add_co_u32_e32 v14, vcc, s42, v12
	v_addc_co_u32_e32 v15, vcc, v10, v13, vcc
	v_add_co_u32_e32 v12, vcc, s4, v12
	global_load_dword v14, v[14:15], off
	v_addc_co_u32_e32 v13, vcc, v11, v13, vcc
	global_load_dword v15, v[12:13], off
	v_lshlrev_b64 v[12:13], 2, v[0:1]
	v_add_u32_e32 v0, s8, v0
	v_cmp_le_i32_e32 vcc, s12, v0
	v_add_co_u32_e64 v12, s[2:3], v7, v12
	v_addc_co_u32_e64 v13, s[2:3], v8, v13, s[2:3]
	s_or_b64 s[6:7], vcc, s[6:7]
	s_waitcnt vmcnt(2)
	v_mul_f32_e32 v1, v3, v16
	s_waitcnt vmcnt(1)
	v_mul_f32_e32 v1, v1, v14
	;; [unrolled: 2-line block ×3, first 2 shown]
	global_store_dword v[12:13], v1, off
	s_andn2_b64 exec, exec, s[6:7]
	s_cbranch_execz .LBB111_6
.LBB111_4:                              ; =>This Inner Loop Header: Depth=1
	s_and_b64 vcc, exec, s[0:1]
	v_mov_b32_e32 v3, 0
	s_cbranch_vccnz .LBB111_3
; %bb.5:                                ;   in Loop: Header=BB111_4 Depth=1
	v_ashrrev_i32_e32 v3, 31, v2
	v_lshlrev_b64 v[12:13], 1, v[2:3]
	v_add_co_u32_e32 v12, vcc, v5, v12
	v_addc_co_u32_e32 v13, vcc, v6, v13, vcc
	global_load_ushort v1, v[12:13], off
	s_waitcnt vmcnt(0)
	v_cvt_f32_f16_e32 v3, v1
	s_branch .LBB111_3
.LBB111_6:
	s_endpgm
	.section	.rodata,"a",@progbits
	.p2align	6, 0x0
	.amdhsa_kernel _ZL11k_bin_bcastIXadL_ZL6op_mulffEE6__halfffJPKfS2_S2_EEvPKT0_PKT1_PT2_iii15HIP_vector_typeIjLj3EESC_SC_SC_SC_iiiiiiiiiiiDpT3_
		.amdhsa_group_segment_fixed_size 0
		.amdhsa_private_segment_fixed_size 0
		.amdhsa_kernarg_size 424
		.amdhsa_user_sgpr_count 6
		.amdhsa_user_sgpr_private_segment_buffer 1
		.amdhsa_user_sgpr_dispatch_ptr 0
		.amdhsa_user_sgpr_queue_ptr 0
		.amdhsa_user_sgpr_kernarg_segment_ptr 1
		.amdhsa_user_sgpr_dispatch_id 0
		.amdhsa_user_sgpr_flat_scratch_init 0
		.amdhsa_user_sgpr_private_segment_size 0
		.amdhsa_uses_dynamic_stack 0
		.amdhsa_system_sgpr_private_segment_wavefront_offset 0
		.amdhsa_system_sgpr_workgroup_id_x 1
		.amdhsa_system_sgpr_workgroup_id_y 1
		.amdhsa_system_sgpr_workgroup_id_z 1
		.amdhsa_system_sgpr_workgroup_info 0
		.amdhsa_system_vgpr_workitem_id 2
		.amdhsa_next_free_vgpr 17
		.amdhsa_next_free_sgpr 52
		.amdhsa_reserve_vcc 1
		.amdhsa_reserve_flat_scratch 0
		.amdhsa_float_round_mode_32 0
		.amdhsa_float_round_mode_16_64 0
		.amdhsa_float_denorm_mode_32 3
		.amdhsa_float_denorm_mode_16_64 3
		.amdhsa_dx10_clamp 1
		.amdhsa_ieee_mode 1
		.amdhsa_fp16_overflow 0
		.amdhsa_exception_fp_ieee_invalid_op 0
		.amdhsa_exception_fp_denorm_src 0
		.amdhsa_exception_fp_ieee_div_zero 0
		.amdhsa_exception_fp_ieee_overflow 0
		.amdhsa_exception_fp_ieee_underflow 0
		.amdhsa_exception_fp_ieee_inexact 0
		.amdhsa_exception_int_div_zero 0
	.end_amdhsa_kernel
	.section	.text._ZL11k_bin_bcastIXadL_ZL6op_mulffEE6__halfffJPKfS2_S2_EEvPKT0_PKT1_PT2_iii15HIP_vector_typeIjLj3EESC_SC_SC_SC_iiiiiiiiiiiDpT3_,"axG",@progbits,_ZL11k_bin_bcastIXadL_ZL6op_mulffEE6__halfffJPKfS2_S2_EEvPKT0_PKT1_PT2_iii15HIP_vector_typeIjLj3EESC_SC_SC_SC_iiiiiiiiiiiDpT3_,comdat
.Lfunc_end111:
	.size	_ZL11k_bin_bcastIXadL_ZL6op_mulffEE6__halfffJPKfS2_S2_EEvPKT0_PKT1_PT2_iii15HIP_vector_typeIjLj3EESC_SC_SC_SC_iiiiiiiiiiiDpT3_, .Lfunc_end111-_ZL11k_bin_bcastIXadL_ZL6op_mulffEE6__halfffJPKfS2_S2_EEvPKT0_PKT1_PT2_iii15HIP_vector_typeIjLj3EESC_SC_SC_SC_iiiiiiiiiiiDpT3_
                                        ; -- End function
	.set _ZL11k_bin_bcastIXadL_ZL6op_mulffEE6__halfffJPKfS2_S2_EEvPKT0_PKT1_PT2_iii15HIP_vector_typeIjLj3EESC_SC_SC_SC_iiiiiiiiiiiDpT3_.num_vgpr, 17
	.set _ZL11k_bin_bcastIXadL_ZL6op_mulffEE6__halfffJPKfS2_S2_EEvPKT0_PKT1_PT2_iii15HIP_vector_typeIjLj3EESC_SC_SC_SC_iiiiiiiiiiiDpT3_.num_agpr, 0
	.set _ZL11k_bin_bcastIXadL_ZL6op_mulffEE6__halfffJPKfS2_S2_EEvPKT0_PKT1_PT2_iii15HIP_vector_typeIjLj3EESC_SC_SC_SC_iiiiiiiiiiiDpT3_.numbered_sgpr, 52
	.set _ZL11k_bin_bcastIXadL_ZL6op_mulffEE6__halfffJPKfS2_S2_EEvPKT0_PKT1_PT2_iii15HIP_vector_typeIjLj3EESC_SC_SC_SC_iiiiiiiiiiiDpT3_.num_named_barrier, 0
	.set _ZL11k_bin_bcastIXadL_ZL6op_mulffEE6__halfffJPKfS2_S2_EEvPKT0_PKT1_PT2_iii15HIP_vector_typeIjLj3EESC_SC_SC_SC_iiiiiiiiiiiDpT3_.private_seg_size, 0
	.set _ZL11k_bin_bcastIXadL_ZL6op_mulffEE6__halfffJPKfS2_S2_EEvPKT0_PKT1_PT2_iii15HIP_vector_typeIjLj3EESC_SC_SC_SC_iiiiiiiiiiiDpT3_.uses_vcc, 1
	.set _ZL11k_bin_bcastIXadL_ZL6op_mulffEE6__halfffJPKfS2_S2_EEvPKT0_PKT1_PT2_iii15HIP_vector_typeIjLj3EESC_SC_SC_SC_iiiiiiiiiiiDpT3_.uses_flat_scratch, 0
	.set _ZL11k_bin_bcastIXadL_ZL6op_mulffEE6__halfffJPKfS2_S2_EEvPKT0_PKT1_PT2_iii15HIP_vector_typeIjLj3EESC_SC_SC_SC_iiiiiiiiiiiDpT3_.has_dyn_sized_stack, 0
	.set _ZL11k_bin_bcastIXadL_ZL6op_mulffEE6__halfffJPKfS2_S2_EEvPKT0_PKT1_PT2_iii15HIP_vector_typeIjLj3EESC_SC_SC_SC_iiiiiiiiiiiDpT3_.has_recursion, 0
	.set _ZL11k_bin_bcastIXadL_ZL6op_mulffEE6__halfffJPKfS2_S2_EEvPKT0_PKT1_PT2_iii15HIP_vector_typeIjLj3EESC_SC_SC_SC_iiiiiiiiiiiDpT3_.has_indirect_call, 0
	.section	.AMDGPU.csdata,"",@progbits
; Kernel info:
; codeLenInByte = 772
; TotalNumSgprs: 56
; NumVgprs: 17
; ScratchSize: 0
; MemoryBound: 0
; FloatMode: 240
; IeeeMode: 1
; LDSByteSize: 0 bytes/workgroup (compile time only)
; SGPRBlocks: 6
; VGPRBlocks: 4
; NumSGPRsForWavesPerEU: 56
; NumVGPRsForWavesPerEU: 17
; Occupancy: 10
; WaveLimiterHint : 1
; COMPUTE_PGM_RSRC2:SCRATCH_EN: 0
; COMPUTE_PGM_RSRC2:USER_SGPR: 6
; COMPUTE_PGM_RSRC2:TRAP_HANDLER: 0
; COMPUTE_PGM_RSRC2:TGID_X_EN: 1
; COMPUTE_PGM_RSRC2:TGID_Y_EN: 1
; COMPUTE_PGM_RSRC2:TGID_Z_EN: 1
; COMPUTE_PGM_RSRC2:TIDIG_COMP_CNT: 2
	.section	.text._ZL19k_bin_bcast_unravelIXadL_ZL6op_mulffEEfffJPKfS1_S1_S1_EEvPKT0_PKT1_PT2_15HIP_vector_typeIjLj3EESB_SB_jSB_SB_SB_SB_SB_SB_iiiiiiiiiiiDpT3_,"axG",@progbits,_ZL19k_bin_bcast_unravelIXadL_ZL6op_mulffEEfffJPKfS1_S1_S1_EEvPKT0_PKT1_PT2_15HIP_vector_typeIjLj3EESB_SB_jSB_SB_SB_SB_SB_SB_iiiiiiiiiiiDpT3_,comdat
	.globl	_ZL19k_bin_bcast_unravelIXadL_ZL6op_mulffEEfffJPKfS1_S1_S1_EEvPKT0_PKT1_PT2_15HIP_vector_typeIjLj3EESB_SB_jSB_SB_SB_SB_SB_SB_iiiiiiiiiiiDpT3_ ; -- Begin function _ZL19k_bin_bcast_unravelIXadL_ZL6op_mulffEEfffJPKfS1_S1_S1_EEvPKT0_PKT1_PT2_15HIP_vector_typeIjLj3EESB_SB_jSB_SB_SB_SB_SB_SB_iiiiiiiiiiiDpT3_
	.p2align	8
	.type	_ZL19k_bin_bcast_unravelIXadL_ZL6op_mulffEEfffJPKfS1_S1_S1_EEvPKT0_PKT1_PT2_15HIP_vector_typeIjLj3EESB_SB_jSB_SB_SB_SB_SB_SB_iiiiiiiiiiiDpT3_,@function
_ZL19k_bin_bcast_unravelIXadL_ZL6op_mulffEEfffJPKfS1_S1_S1_EEvPKT0_PKT1_PT2_15HIP_vector_typeIjLj3EESB_SB_jSB_SB_SB_SB_SB_SB_iiiiiiiiiiiDpT3_: ; @_ZL19k_bin_bcast_unravelIXadL_ZL6op_mulffEEfffJPKfS1_S1_S1_EEvPKT0_PKT1_PT2_15HIP_vector_typeIjLj3EESB_SB_jSB_SB_SB_SB_SB_SB_iiiiiiiiiiiDpT3_
; %bb.0:
	s_load_dword s0, s[4:5], 0xe4
	s_load_dwordx8 s[8:15], s[4:5], 0x38
	s_waitcnt lgkmcnt(0)
	s_and_b32 s0, s0, 0xffff
	s_mul_i32 s6, s6, s0
	v_add_u32_e32 v0, s6, v0
	v_mul_hi_u32 v1, v0, s10
	s_load_dwordx4 s[0:3], s[4:5], 0x18
	s_waitcnt lgkmcnt(0)
	s_load_dword s3, s[4:5], 0x2c
	v_add_u32_e32 v1, v0, v1
	v_lshrrev_b32_e32 v1, s11, v1
	v_mul_lo_u32 v2, v1, s12
	v_sub_u32_e32 v0, v0, v2
	v_mul_hi_u32 v2, v0, s13
	v_add_u32_e32 v2, v0, v2
	v_lshrrev_b32_e32 v3, s14, v2
	v_mul_lo_u32 v2, v3, s15
	v_cmp_gt_u32_e32 vcc, s8, v3
	v_sub_u32_e32 v0, v0, v2
	v_mul_hi_u32 v2, v0, s0
	v_add_u32_e32 v2, v0, v2
	v_lshrrev_b32_e32 v4, s1, v2
	v_mul_lo_u32 v2, v4, s2
	s_waitcnt lgkmcnt(0)
	v_cmp_gt_u32_e64 s[0:1], s3, v4
	v_sub_u32_e32 v0, v0, v2
	v_cmp_gt_u32_e64 s[2:3], s2, v0
	s_and_b64 s[0:1], s[2:3], s[0:1]
	s_and_b64 s[0:1], s[0:1], vcc
	v_cmp_gt_u32_e32 vcc, s9, v1
	s_and_b64 s[0:1], vcc, s[0:1]
	s_and_saveexec_b64 s[2:3], s[0:1]
	s_cbranch_execz .LBB112_4
; %bb.1:
	s_load_dwordx2 s[6:7], s[4:5], 0x0
	s_load_dwordx4 s[0:3], s[4:5], 0xa8
	s_load_dwordx8 s[8:15], s[4:5], 0x88
	s_load_dwordx4 s[24:27], s[4:5], 0x78
	s_load_dwordx8 s[16:23], s[4:5], 0x58
	v_mov_b32_e32 v2, 0
	s_waitcnt lgkmcnt(0)
	s_cmp_eq_u64 s[6:7], 0
	v_mov_b32_e32 v5, 0
	s_cbranch_scc1 .LBB112_3
; %bb.2:
	v_mul_lo_u32 v5, v1, s14
	v_mul_lo_u32 v7, v3, s13
	;; [unrolled: 1-line block ×3, first 2 shown]
	v_mov_b32_e32 v6, 0
	v_mov_b32_e32 v9, s7
	v_add3_u32 v5, v7, v5, v8
	v_lshlrev_b64 v[7:8], 2, v[5:6]
	v_mul_lo_u32 v5, v0, s11
	v_add_co_u32_e32 v7, vcc, s6, v7
	v_addc_co_u32_e32 v8, vcc, v9, v8, vcc
	v_lshlrev_b64 v[5:6], 2, v[5:6]
	v_add_co_u32_e32 v5, vcc, v7, v5
	v_addc_co_u32_e32 v6, vcc, v8, v6, vcc
	global_load_dword v5, v[5:6], off
.LBB112_3:
	v_mul_hi_u32 v6, s19, v4
	v_mul_hi_u32 v7, s22, v3
	;; [unrolled: 1-line block ×4, first 2 shown]
	v_add_u32_e32 v6, v4, v6
	v_add_u32_e32 v7, v3, v7
	;; [unrolled: 1-line block ×3, first 2 shown]
	v_lshrrev_b32_e32 v6, s20, v6
	v_lshrrev_b32_e32 v7, s23, v7
	;; [unrolled: 1-line block ×3, first 2 shown]
	v_add_u32_e32 v9, v0, v9
	v_mul_lo_u32 v6, v6, s21
	v_mul_lo_u32 v7, v7, s24
	;; [unrolled: 1-line block ×3, first 2 shown]
	v_lshrrev_b32_e32 v9, s17, v9
	v_mul_lo_u32 v9, v9, s18
	v_sub_u32_e32 v6, v4, v6
	v_sub_u32_e32 v7, v3, v7
	;; [unrolled: 1-line block ×3, first 2 shown]
	v_mul_lo_u32 v8, v8, s2
	v_mul_lo_u32 v7, v7, s1
	;; [unrolled: 1-line block ×3, first 2 shown]
	v_sub_u32_e32 v9, v0, v9
	v_mul_lo_u32 v9, v9, s15
	s_load_dwordx8 s[12:19], s[4:5], 0xb8
	v_add3_u32 v6, v7, v8, v6
	v_ashrrev_i32_e32 v7, 31, v6
	v_ashrrev_i32_e32 v8, 31, v9
	v_add_co_u32_e32 v6, vcc, v9, v6
	v_addc_co_u32_e32 v7, vcc, v8, v7, vcc
	v_lshlrev_b64 v[6:7], 2, v[6:7]
	s_waitcnt lgkmcnt(0)
	v_mov_b32_e32 v9, s13
	v_add_co_u32_e32 v8, vcc, s12, v6
	v_addc_co_u32_e32 v9, vcc, v9, v7, vcc
	global_load_dword v10, v[8:9], off
	v_mov_b32_e32 v9, s15
	v_add_co_u32_e32 v8, vcc, s14, v6
	v_addc_co_u32_e32 v9, vcc, v9, v7, vcc
	global_load_dword v11, v[8:9], off
	;; [unrolled: 4-line block ×4, first 2 shown]
	v_mul_lo_u32 v7, v1, s10
	v_mul_lo_u32 v9, v3, s9
	;; [unrolled: 1-line block ×3, first 2 shown]
	s_load_dwordx2 s[0:1], s[4:5], 0x10
	v_mov_b32_e32 v1, v2
	v_lshlrev_b64 v[3:4], 2, v[0:1]
	v_add3_u32 v1, v9, v7, v12
	v_lshlrev_b64 v[0:1], 2, v[1:2]
	s_waitcnt lgkmcnt(0)
	v_mov_b32_e32 v2, s1
	v_add_co_u32_e32 v0, vcc, s0, v0
	v_addc_co_u32_e32 v1, vcc, v2, v1, vcc
	v_add_co_u32_e32 v0, vcc, v0, v3
	v_addc_co_u32_e32 v1, vcc, v1, v4, vcc
	s_waitcnt vmcnt(3)
	v_mul_f32_e32 v2, v5, v10
	s_waitcnt vmcnt(2)
	v_mul_f32_e32 v2, v2, v11
	;; [unrolled: 2-line block ×4, first 2 shown]
	global_store_dword v[0:1], v2, off
.LBB112_4:
	s_endpgm
	.section	.rodata,"a",@progbits
	.p2align	6, 0x0
	.amdhsa_kernel _ZL19k_bin_bcast_unravelIXadL_ZL6op_mulffEEfffJPKfS1_S1_S1_EEvPKT0_PKT1_PT2_15HIP_vector_typeIjLj3EESB_SB_jSB_SB_SB_SB_SB_SB_iiiiiiiiiiiDpT3_
		.amdhsa_group_segment_fixed_size 0
		.amdhsa_private_segment_fixed_size 0
		.amdhsa_kernarg_size 472
		.amdhsa_user_sgpr_count 6
		.amdhsa_user_sgpr_private_segment_buffer 1
		.amdhsa_user_sgpr_dispatch_ptr 0
		.amdhsa_user_sgpr_queue_ptr 0
		.amdhsa_user_sgpr_kernarg_segment_ptr 1
		.amdhsa_user_sgpr_dispatch_id 0
		.amdhsa_user_sgpr_flat_scratch_init 0
		.amdhsa_user_sgpr_private_segment_size 0
		.amdhsa_uses_dynamic_stack 0
		.amdhsa_system_sgpr_private_segment_wavefront_offset 0
		.amdhsa_system_sgpr_workgroup_id_x 1
		.amdhsa_system_sgpr_workgroup_id_y 0
		.amdhsa_system_sgpr_workgroup_id_z 0
		.amdhsa_system_sgpr_workgroup_info 0
		.amdhsa_system_vgpr_workitem_id 0
		.amdhsa_next_free_vgpr 13
		.amdhsa_next_free_sgpr 28
		.amdhsa_reserve_vcc 1
		.amdhsa_reserve_flat_scratch 0
		.amdhsa_float_round_mode_32 0
		.amdhsa_float_round_mode_16_64 0
		.amdhsa_float_denorm_mode_32 3
		.amdhsa_float_denorm_mode_16_64 3
		.amdhsa_dx10_clamp 1
		.amdhsa_ieee_mode 1
		.amdhsa_fp16_overflow 0
		.amdhsa_exception_fp_ieee_invalid_op 0
		.amdhsa_exception_fp_denorm_src 0
		.amdhsa_exception_fp_ieee_div_zero 0
		.amdhsa_exception_fp_ieee_overflow 0
		.amdhsa_exception_fp_ieee_underflow 0
		.amdhsa_exception_fp_ieee_inexact 0
		.amdhsa_exception_int_div_zero 0
	.end_amdhsa_kernel
	.section	.text._ZL19k_bin_bcast_unravelIXadL_ZL6op_mulffEEfffJPKfS1_S1_S1_EEvPKT0_PKT1_PT2_15HIP_vector_typeIjLj3EESB_SB_jSB_SB_SB_SB_SB_SB_iiiiiiiiiiiDpT3_,"axG",@progbits,_ZL19k_bin_bcast_unravelIXadL_ZL6op_mulffEEfffJPKfS1_S1_S1_EEvPKT0_PKT1_PT2_15HIP_vector_typeIjLj3EESB_SB_jSB_SB_SB_SB_SB_SB_iiiiiiiiiiiDpT3_,comdat
.Lfunc_end112:
	.size	_ZL19k_bin_bcast_unravelIXadL_ZL6op_mulffEEfffJPKfS1_S1_S1_EEvPKT0_PKT1_PT2_15HIP_vector_typeIjLj3EESB_SB_jSB_SB_SB_SB_SB_SB_iiiiiiiiiiiDpT3_, .Lfunc_end112-_ZL19k_bin_bcast_unravelIXadL_ZL6op_mulffEEfffJPKfS1_S1_S1_EEvPKT0_PKT1_PT2_15HIP_vector_typeIjLj3EESB_SB_jSB_SB_SB_SB_SB_SB_iiiiiiiiiiiDpT3_
                                        ; -- End function
	.set _ZL19k_bin_bcast_unravelIXadL_ZL6op_mulffEEfffJPKfS1_S1_S1_EEvPKT0_PKT1_PT2_15HIP_vector_typeIjLj3EESB_SB_jSB_SB_SB_SB_SB_SB_iiiiiiiiiiiDpT3_.num_vgpr, 13
	.set _ZL19k_bin_bcast_unravelIXadL_ZL6op_mulffEEfffJPKfS1_S1_S1_EEvPKT0_PKT1_PT2_15HIP_vector_typeIjLj3EESB_SB_jSB_SB_SB_SB_SB_SB_iiiiiiiiiiiDpT3_.num_agpr, 0
	.set _ZL19k_bin_bcast_unravelIXadL_ZL6op_mulffEEfffJPKfS1_S1_S1_EEvPKT0_PKT1_PT2_15HIP_vector_typeIjLj3EESB_SB_jSB_SB_SB_SB_SB_SB_iiiiiiiiiiiDpT3_.numbered_sgpr, 28
	.set _ZL19k_bin_bcast_unravelIXadL_ZL6op_mulffEEfffJPKfS1_S1_S1_EEvPKT0_PKT1_PT2_15HIP_vector_typeIjLj3EESB_SB_jSB_SB_SB_SB_SB_SB_iiiiiiiiiiiDpT3_.num_named_barrier, 0
	.set _ZL19k_bin_bcast_unravelIXadL_ZL6op_mulffEEfffJPKfS1_S1_S1_EEvPKT0_PKT1_PT2_15HIP_vector_typeIjLj3EESB_SB_jSB_SB_SB_SB_SB_SB_iiiiiiiiiiiDpT3_.private_seg_size, 0
	.set _ZL19k_bin_bcast_unravelIXadL_ZL6op_mulffEEfffJPKfS1_S1_S1_EEvPKT0_PKT1_PT2_15HIP_vector_typeIjLj3EESB_SB_jSB_SB_SB_SB_SB_SB_iiiiiiiiiiiDpT3_.uses_vcc, 1
	.set _ZL19k_bin_bcast_unravelIXadL_ZL6op_mulffEEfffJPKfS1_S1_S1_EEvPKT0_PKT1_PT2_15HIP_vector_typeIjLj3EESB_SB_jSB_SB_SB_SB_SB_SB_iiiiiiiiiiiDpT3_.uses_flat_scratch, 0
	.set _ZL19k_bin_bcast_unravelIXadL_ZL6op_mulffEEfffJPKfS1_S1_S1_EEvPKT0_PKT1_PT2_15HIP_vector_typeIjLj3EESB_SB_jSB_SB_SB_SB_SB_SB_iiiiiiiiiiiDpT3_.has_dyn_sized_stack, 0
	.set _ZL19k_bin_bcast_unravelIXadL_ZL6op_mulffEEfffJPKfS1_S1_S1_EEvPKT0_PKT1_PT2_15HIP_vector_typeIjLj3EESB_SB_jSB_SB_SB_SB_SB_SB_iiiiiiiiiiiDpT3_.has_recursion, 0
	.set _ZL19k_bin_bcast_unravelIXadL_ZL6op_mulffEEfffJPKfS1_S1_S1_EEvPKT0_PKT1_PT2_15HIP_vector_typeIjLj3EESB_SB_jSB_SB_SB_SB_SB_SB_iiiiiiiiiiiDpT3_.has_indirect_call, 0
	.section	.AMDGPU.csdata,"",@progbits
; Kernel info:
; codeLenInByte = 732
; TotalNumSgprs: 32
; NumVgprs: 13
; ScratchSize: 0
; MemoryBound: 0
; FloatMode: 240
; IeeeMode: 1
; LDSByteSize: 0 bytes/workgroup (compile time only)
; SGPRBlocks: 3
; VGPRBlocks: 3
; NumSGPRsForWavesPerEU: 32
; NumVGPRsForWavesPerEU: 13
; Occupancy: 10
; WaveLimiterHint : 1
; COMPUTE_PGM_RSRC2:SCRATCH_EN: 0
; COMPUTE_PGM_RSRC2:USER_SGPR: 6
; COMPUTE_PGM_RSRC2:TRAP_HANDLER: 0
; COMPUTE_PGM_RSRC2:TGID_X_EN: 1
; COMPUTE_PGM_RSRC2:TGID_Y_EN: 0
; COMPUTE_PGM_RSRC2:TGID_Z_EN: 0
; COMPUTE_PGM_RSRC2:TIDIG_COMP_CNT: 0
	.section	.text._ZL11k_bin_bcastIXadL_ZL6op_mulffEEfffJPKfS1_S1_S1_EEvPKT0_PKT1_PT2_iii15HIP_vector_typeIjLj3EESB_SB_SB_SB_iiiiiiiiiiiDpT3_,"axG",@progbits,_ZL11k_bin_bcastIXadL_ZL6op_mulffEEfffJPKfS1_S1_S1_EEvPKT0_PKT1_PT2_iii15HIP_vector_typeIjLj3EESB_SB_SB_SB_iiiiiiiiiiiDpT3_,comdat
	.globl	_ZL11k_bin_bcastIXadL_ZL6op_mulffEEfffJPKfS1_S1_S1_EEvPKT0_PKT1_PT2_iii15HIP_vector_typeIjLj3EESB_SB_SB_SB_iiiiiiiiiiiDpT3_ ; -- Begin function _ZL11k_bin_bcastIXadL_ZL6op_mulffEEfffJPKfS1_S1_S1_EEvPKT0_PKT1_PT2_iii15HIP_vector_typeIjLj3EESB_SB_SB_SB_iiiiiiiiiiiDpT3_
	.p2align	8
	.type	_ZL11k_bin_bcastIXadL_ZL6op_mulffEEfffJPKfS1_S1_S1_EEvPKT0_PKT1_PT2_iii15HIP_vector_typeIjLj3EESB_SB_SB_SB_iiiiiiiiiiiDpT3_,@function
_ZL11k_bin_bcastIXadL_ZL6op_mulffEEfffJPKfS1_S1_S1_EEvPKT0_PKT1_PT2_iii15HIP_vector_typeIjLj3EESB_SB_SB_SB_iiiiiiiiiiiDpT3_: ; @_ZL11k_bin_bcastIXadL_ZL6op_mulffEEfffJPKfS1_S1_S1_EEvPKT0_PKT1_PT2_iii15HIP_vector_typeIjLj3EESB_SB_SB_SB_iiiiiiiiiiiDpT3_
; %bb.0:
	s_load_dwordx2 s[0:1], s[4:5], 0xbc
	s_load_dwordx8 s[12:19], s[4:5], 0x18
	s_add_u32 s2, s4, 0xb0
	s_addc_u32 s3, s5, 0
	s_waitcnt lgkmcnt(0)
	s_and_b32 s1, s1, 0xffff
	s_mul_i32 s8, s8, s1
	v_add_u32_e32 v3, s8, v2
	v_mul_hi_u32 v2, v3, s15
	s_lshr_b32 s1, s0, 16
	s_and_b32 s8, s0, 0xffff
	s_mul_i32 s6, s6, s8
	v_add_u32_e32 v2, v3, v2
	v_lshrrev_b32_e32 v2, s16, v2
	v_mul_lo_u32 v4, v2, s17
	s_mul_i32 s7, s7, s1
	v_add_u32_e32 v0, s6, v0
	v_add_u32_e32 v1, s7, v1
	v_cmp_gt_u32_e32 vcc, s12, v0
	v_cmp_gt_u32_e64 s[0:1], s13, v1
	v_sub_u32_e32 v3, v3, v4
	s_and_b64 s[0:1], vcc, s[0:1]
	v_cmp_gt_u32_e32 vcc, s14, v2
	s_and_b64 s[0:1], s[0:1], vcc
	v_cmp_gt_u32_e32 vcc, s17, v3
	s_and_b64 s[0:1], s[0:1], vcc
	s_and_saveexec_b64 s[6:7], s[0:1]
	s_cbranch_execz .LBB113_6
; %bb.1:
	v_cmp_gt_i32_e32 vcc, s12, v0
	s_and_b64 exec, exec, vcc
	s_cbranch_execz .LBB113_6
; %bb.2:
	s_load_dwordx8 s[36:43], s[4:5], 0x3c
	s_load_dwordx8 s[20:27], s[4:5], 0x60
	s_load_dwordx4 s[28:31], s[4:5], 0x80
	s_load_dword s6, s[2:3], 0x0
	s_load_dword s0, s[4:5], 0x5c
	s_waitcnt lgkmcnt(0)
	v_mul_hi_u32 v4, s36, v1
	v_mul_hi_u32 v5, s39, v2
	;; [unrolled: 1-line block ×3, first 2 shown]
	v_mul_lo_u32 v7, v3, s26
	v_add_u32_e32 v4, v1, v4
	v_add_u32_e32 v5, v2, v5
	;; [unrolled: 1-line block ×3, first 2 shown]
	v_lshrrev_b32_e32 v4, s37, v4
	v_lshrrev_b32_e32 v5, s40, v5
	;; [unrolled: 1-line block ×3, first 2 shown]
	v_mul_lo_u32 v4, v4, s38
	v_mul_lo_u32 v5, v5, s41
	;; [unrolled: 1-line block ×5, first 2 shown]
	v_sub_u32_e32 v4, v1, v4
	v_sub_u32_e32 v5, v2, v5
	;; [unrolled: 1-line block ×3, first 2 shown]
	s_load_dword s9, s[4:5], 0x38
	s_load_dwordx2 s[0:1], s[4:5], 0x0
	s_load_dwordx2 s[2:3], s[4:5], 0x10
	v_mul_lo_u32 v6, v6, s30
	v_mul_lo_u32 v5, v5, s29
	;; [unrolled: 1-line block ×6, first 2 shown]
	v_add3_u32 v1, v8, v9, v7
	v_mov_b32_e32 v2, 0
	v_mov_b32_e32 v8, v2
	v_lshlrev_b64 v[1:2], 2, v[1:2]
	v_add3_u32 v4, v5, v6, v4
	v_add3_u32 v7, v10, v11, v3
	s_waitcnt lgkmcnt(0)
	v_mov_b32_e32 v3, s1
	v_add_co_u32_e32 v5, vcc, s0, v1
	v_addc_co_u32_e32 v6, vcc, v3, v2, vcc
	v_lshlrev_b64 v[1:2], 2, v[7:8]
	s_load_dwordx8 s[36:43], s[4:5], 0x90
	v_mov_b32_e32 v3, s3
	v_add_co_u32_e32 v7, vcc, s2, v1
	v_addc_co_u32_e32 v8, vcc, v3, v2, vcc
	s_cmp_lg_u64 s[0:1], 0
	v_mul_lo_u32 v2, s23, v0
	s_cselect_b64 s[0:1], -1, 0
	s_mul_i32 s6, s6, s8
	v_cndmask_b32_e64 v1, 0, 1, s[0:1]
	s_mov_b64 s[4:5], 0
	s_mul_i32 s7, s6, s23
	s_sub_i32 s8, 0, s9
	v_cmp_ne_u32_e64 s[0:1], 1, v1
	s_waitcnt lgkmcnt(0)
	v_mov_b32_e32 v9, s37
	v_mov_b32_e32 v10, s39
	v_mov_b32_e32 v11, s41
	v_mov_b32_e32 v12, s43
	s_branch .LBB113_4
.LBB113_3:                              ;   in Loop: Header=BB113_4 Depth=1
	v_mul_hi_u32 v1, s18, v0
	v_add_u32_e32 v2, s7, v2
	v_add_u32_e32 v1, v0, v1
	v_lshrrev_b32_e32 v1, s19, v1
	v_mad_u64_u32 v[13:14], s[2:3], s8, v1, v[0:1]
	v_mul_lo_u32 v1, v13, s27
	v_add_co_u32_e32 v13, vcc, v1, v4
	v_addc_co_u32_e64 v14, s[2:3], 0, 0, vcc
	v_lshlrev_b64 v[13:14], 2, v[13:14]
	v_ashrrev_i32_e32 v1, 31, v0
	v_add_co_u32_e32 v15, vcc, s36, v13
	v_addc_co_u32_e32 v16, vcc, v9, v14, vcc
	global_load_dword v17, v[15:16], off
	v_add_co_u32_e32 v15, vcc, s38, v13
	v_addc_co_u32_e32 v16, vcc, v10, v14, vcc
	global_load_dword v18, v[15:16], off
	v_add_co_u32_e32 v15, vcc, s40, v13
	v_addc_co_u32_e32 v16, vcc, v11, v14, vcc
	v_add_co_u32_e32 v13, vcc, s42, v13
	global_load_dword v15, v[15:16], off
	v_addc_co_u32_e32 v14, vcc, v12, v14, vcc
	global_load_dword v16, v[13:14], off
	v_lshlrev_b64 v[13:14], 2, v[0:1]
	v_add_u32_e32 v0, s6, v0
	v_cmp_le_i32_e32 vcc, s12, v0
	v_add_co_u32_e64 v13, s[2:3], v7, v13
	v_addc_co_u32_e64 v14, s[2:3], v8, v14, s[2:3]
	s_or_b64 s[4:5], vcc, s[4:5]
	s_waitcnt vmcnt(3)
	v_mul_f32_e32 v1, v3, v17
	s_waitcnt vmcnt(2)
	v_mul_f32_e32 v1, v1, v18
	;; [unrolled: 2-line block ×4, first 2 shown]
	global_store_dword v[13:14], v1, off
	s_andn2_b64 exec, exec, s[4:5]
	s_cbranch_execz .LBB113_6
.LBB113_4:                              ; =>This Inner Loop Header: Depth=1
	s_and_b64 vcc, exec, s[0:1]
	v_mov_b32_e32 v3, 0
	s_cbranch_vccnz .LBB113_3
; %bb.5:                                ;   in Loop: Header=BB113_4 Depth=1
	v_ashrrev_i32_e32 v3, 31, v2
	v_lshlrev_b64 v[13:14], 2, v[2:3]
	v_add_co_u32_e32 v13, vcc, v5, v13
	v_addc_co_u32_e32 v14, vcc, v6, v14, vcc
	global_load_dword v3, v[13:14], off
	s_branch .LBB113_3
.LBB113_6:
	s_endpgm
	.section	.rodata,"a",@progbits
	.p2align	6, 0x0
	.amdhsa_kernel _ZL11k_bin_bcastIXadL_ZL6op_mulffEEfffJPKfS1_S1_S1_EEvPKT0_PKT1_PT2_iii15HIP_vector_typeIjLj3EESB_SB_SB_SB_iiiiiiiiiiiDpT3_
		.amdhsa_group_segment_fixed_size 0
		.amdhsa_private_segment_fixed_size 0
		.amdhsa_kernarg_size 432
		.amdhsa_user_sgpr_count 6
		.amdhsa_user_sgpr_private_segment_buffer 1
		.amdhsa_user_sgpr_dispatch_ptr 0
		.amdhsa_user_sgpr_queue_ptr 0
		.amdhsa_user_sgpr_kernarg_segment_ptr 1
		.amdhsa_user_sgpr_dispatch_id 0
		.amdhsa_user_sgpr_flat_scratch_init 0
		.amdhsa_user_sgpr_private_segment_size 0
		.amdhsa_uses_dynamic_stack 0
		.amdhsa_system_sgpr_private_segment_wavefront_offset 0
		.amdhsa_system_sgpr_workgroup_id_x 1
		.amdhsa_system_sgpr_workgroup_id_y 1
		.amdhsa_system_sgpr_workgroup_id_z 1
		.amdhsa_system_sgpr_workgroup_info 0
		.amdhsa_system_vgpr_workitem_id 2
		.amdhsa_next_free_vgpr 19
		.amdhsa_next_free_sgpr 44
		.amdhsa_reserve_vcc 1
		.amdhsa_reserve_flat_scratch 0
		.amdhsa_float_round_mode_32 0
		.amdhsa_float_round_mode_16_64 0
		.amdhsa_float_denorm_mode_32 3
		.amdhsa_float_denorm_mode_16_64 3
		.amdhsa_dx10_clamp 1
		.amdhsa_ieee_mode 1
		.amdhsa_fp16_overflow 0
		.amdhsa_exception_fp_ieee_invalid_op 0
		.amdhsa_exception_fp_denorm_src 0
		.amdhsa_exception_fp_ieee_div_zero 0
		.amdhsa_exception_fp_ieee_overflow 0
		.amdhsa_exception_fp_ieee_underflow 0
		.amdhsa_exception_fp_ieee_inexact 0
		.amdhsa_exception_int_div_zero 0
	.end_amdhsa_kernel
	.section	.text._ZL11k_bin_bcastIXadL_ZL6op_mulffEEfffJPKfS1_S1_S1_EEvPKT0_PKT1_PT2_iii15HIP_vector_typeIjLj3EESB_SB_SB_SB_iiiiiiiiiiiDpT3_,"axG",@progbits,_ZL11k_bin_bcastIXadL_ZL6op_mulffEEfffJPKfS1_S1_S1_EEvPKT0_PKT1_PT2_iii15HIP_vector_typeIjLj3EESB_SB_SB_SB_iiiiiiiiiiiDpT3_,comdat
.Lfunc_end113:
	.size	_ZL11k_bin_bcastIXadL_ZL6op_mulffEEfffJPKfS1_S1_S1_EEvPKT0_PKT1_PT2_iii15HIP_vector_typeIjLj3EESB_SB_SB_SB_iiiiiiiiiiiDpT3_, .Lfunc_end113-_ZL11k_bin_bcastIXadL_ZL6op_mulffEEfffJPKfS1_S1_S1_EEvPKT0_PKT1_PT2_iii15HIP_vector_typeIjLj3EESB_SB_SB_SB_iiiiiiiiiiiDpT3_
                                        ; -- End function
	.set _ZL11k_bin_bcastIXadL_ZL6op_mulffEEfffJPKfS1_S1_S1_EEvPKT0_PKT1_PT2_iii15HIP_vector_typeIjLj3EESB_SB_SB_SB_iiiiiiiiiiiDpT3_.num_vgpr, 19
	.set _ZL11k_bin_bcastIXadL_ZL6op_mulffEEfffJPKfS1_S1_S1_EEvPKT0_PKT1_PT2_iii15HIP_vector_typeIjLj3EESB_SB_SB_SB_iiiiiiiiiiiDpT3_.num_agpr, 0
	.set _ZL11k_bin_bcastIXadL_ZL6op_mulffEEfffJPKfS1_S1_S1_EEvPKT0_PKT1_PT2_iii15HIP_vector_typeIjLj3EESB_SB_SB_SB_iiiiiiiiiiiDpT3_.numbered_sgpr, 44
	.set _ZL11k_bin_bcastIXadL_ZL6op_mulffEEfffJPKfS1_S1_S1_EEvPKT0_PKT1_PT2_iii15HIP_vector_typeIjLj3EESB_SB_SB_SB_iiiiiiiiiiiDpT3_.num_named_barrier, 0
	.set _ZL11k_bin_bcastIXadL_ZL6op_mulffEEfffJPKfS1_S1_S1_EEvPKT0_PKT1_PT2_iii15HIP_vector_typeIjLj3EESB_SB_SB_SB_iiiiiiiiiiiDpT3_.private_seg_size, 0
	.set _ZL11k_bin_bcastIXadL_ZL6op_mulffEEfffJPKfS1_S1_S1_EEvPKT0_PKT1_PT2_iii15HIP_vector_typeIjLj3EESB_SB_SB_SB_iiiiiiiiiiiDpT3_.uses_vcc, 1
	.set _ZL11k_bin_bcastIXadL_ZL6op_mulffEEfffJPKfS1_S1_S1_EEvPKT0_PKT1_PT2_iii15HIP_vector_typeIjLj3EESB_SB_SB_SB_iiiiiiiiiiiDpT3_.uses_flat_scratch, 0
	.set _ZL11k_bin_bcastIXadL_ZL6op_mulffEEfffJPKfS1_S1_S1_EEvPKT0_PKT1_PT2_iii15HIP_vector_typeIjLj3EESB_SB_SB_SB_iiiiiiiiiiiDpT3_.has_dyn_sized_stack, 0
	.set _ZL11k_bin_bcastIXadL_ZL6op_mulffEEfffJPKfS1_S1_S1_EEvPKT0_PKT1_PT2_iii15HIP_vector_typeIjLj3EESB_SB_SB_SB_iiiiiiiiiiiDpT3_.has_recursion, 0
	.set _ZL11k_bin_bcastIXadL_ZL6op_mulffEEfffJPKfS1_S1_S1_EEvPKT0_PKT1_PT2_iii15HIP_vector_typeIjLj3EESB_SB_SB_SB_iiiiiiiiiiiDpT3_.has_indirect_call, 0
	.section	.AMDGPU.csdata,"",@progbits
; Kernel info:
; codeLenInByte = 792
; TotalNumSgprs: 48
; NumVgprs: 19
; ScratchSize: 0
; MemoryBound: 0
; FloatMode: 240
; IeeeMode: 1
; LDSByteSize: 0 bytes/workgroup (compile time only)
; SGPRBlocks: 5
; VGPRBlocks: 4
; NumSGPRsForWavesPerEU: 48
; NumVGPRsForWavesPerEU: 19
; Occupancy: 10
; WaveLimiterHint : 1
; COMPUTE_PGM_RSRC2:SCRATCH_EN: 0
; COMPUTE_PGM_RSRC2:USER_SGPR: 6
; COMPUTE_PGM_RSRC2:TRAP_HANDLER: 0
; COMPUTE_PGM_RSRC2:TGID_X_EN: 1
; COMPUTE_PGM_RSRC2:TGID_Y_EN: 1
; COMPUTE_PGM_RSRC2:TGID_Z_EN: 1
; COMPUTE_PGM_RSRC2:TIDIG_COMP_CNT: 2
	.section	.text._ZL19k_bin_bcast_unravelIXadL_ZL6op_mulffEE6__halfS0_S0_JPKS0_S2_S2_S2_EEvPKT0_PKT1_PT2_15HIP_vector_typeIjLj3EESC_SC_jSC_SC_SC_SC_SC_SC_iiiiiiiiiiiDpT3_,"axG",@progbits,_ZL19k_bin_bcast_unravelIXadL_ZL6op_mulffEE6__halfS0_S0_JPKS0_S2_S2_S2_EEvPKT0_PKT1_PT2_15HIP_vector_typeIjLj3EESC_SC_jSC_SC_SC_SC_SC_SC_iiiiiiiiiiiDpT3_,comdat
	.globl	_ZL19k_bin_bcast_unravelIXadL_ZL6op_mulffEE6__halfS0_S0_JPKS0_S2_S2_S2_EEvPKT0_PKT1_PT2_15HIP_vector_typeIjLj3EESC_SC_jSC_SC_SC_SC_SC_SC_iiiiiiiiiiiDpT3_ ; -- Begin function _ZL19k_bin_bcast_unravelIXadL_ZL6op_mulffEE6__halfS0_S0_JPKS0_S2_S2_S2_EEvPKT0_PKT1_PT2_15HIP_vector_typeIjLj3EESC_SC_jSC_SC_SC_SC_SC_SC_iiiiiiiiiiiDpT3_
	.p2align	8
	.type	_ZL19k_bin_bcast_unravelIXadL_ZL6op_mulffEE6__halfS0_S0_JPKS0_S2_S2_S2_EEvPKT0_PKT1_PT2_15HIP_vector_typeIjLj3EESC_SC_jSC_SC_SC_SC_SC_SC_iiiiiiiiiiiDpT3_,@function
_ZL19k_bin_bcast_unravelIXadL_ZL6op_mulffEE6__halfS0_S0_JPKS0_S2_S2_S2_EEvPKT0_PKT1_PT2_15HIP_vector_typeIjLj3EESC_SC_jSC_SC_SC_SC_SC_SC_iiiiiiiiiiiDpT3_: ; @_ZL19k_bin_bcast_unravelIXadL_ZL6op_mulffEE6__halfS0_S0_JPKS0_S2_S2_S2_EEvPKT0_PKT1_PT2_15HIP_vector_typeIjLj3EESC_SC_jSC_SC_SC_SC_SC_SC_iiiiiiiiiiiDpT3_
; %bb.0:
	s_load_dword s0, s[4:5], 0xe4
	s_load_dwordx8 s[8:15], s[4:5], 0x38
	s_waitcnt lgkmcnt(0)
	s_and_b32 s0, s0, 0xffff
	s_mul_i32 s6, s6, s0
	v_add_u32_e32 v0, s6, v0
	v_mul_hi_u32 v1, v0, s10
	s_load_dwordx4 s[0:3], s[4:5], 0x18
	s_waitcnt lgkmcnt(0)
	s_load_dword s3, s[4:5], 0x2c
	v_add_u32_e32 v1, v0, v1
	v_lshrrev_b32_e32 v1, s11, v1
	v_mul_lo_u32 v2, v1, s12
	v_sub_u32_e32 v0, v0, v2
	v_mul_hi_u32 v2, v0, s13
	v_add_u32_e32 v2, v0, v2
	v_lshrrev_b32_e32 v3, s14, v2
	v_mul_lo_u32 v2, v3, s15
	v_cmp_gt_u32_e32 vcc, s8, v3
	v_sub_u32_e32 v0, v0, v2
	v_mul_hi_u32 v2, v0, s0
	v_add_u32_e32 v2, v0, v2
	v_lshrrev_b32_e32 v4, s1, v2
	v_mul_lo_u32 v2, v4, s2
	s_waitcnt lgkmcnt(0)
	v_cmp_gt_u32_e64 s[0:1], s3, v4
	v_sub_u32_e32 v0, v0, v2
	v_cmp_gt_u32_e64 s[2:3], s2, v0
	s_and_b64 s[0:1], s[2:3], s[0:1]
	s_and_b64 s[0:1], s[0:1], vcc
	v_cmp_gt_u32_e32 vcc, s9, v1
	s_and_b64 s[0:1], vcc, s[0:1]
	s_and_saveexec_b64 s[2:3], s[0:1]
	s_cbranch_execz .LBB114_4
; %bb.1:
	s_load_dwordx2 s[6:7], s[4:5], 0x0
	s_load_dwordx4 s[0:3], s[4:5], 0xa8
	s_load_dwordx8 s[8:15], s[4:5], 0x88
	s_load_dwordx4 s[24:27], s[4:5], 0x78
	s_load_dwordx8 s[16:23], s[4:5], 0x58
	v_mov_b32_e32 v2, 0
	s_waitcnt lgkmcnt(0)
	s_cmp_eq_u64 s[6:7], 0
	v_mov_b32_e32 v5, 0
	s_cbranch_scc1 .LBB114_3
; %bb.2:
	v_mul_lo_u32 v5, v1, s14
	v_mul_lo_u32 v7, v3, s13
	;; [unrolled: 1-line block ×3, first 2 shown]
	v_mov_b32_e32 v6, 0
	v_mov_b32_e32 v9, s7
	v_add3_u32 v5, v7, v5, v8
	v_lshlrev_b64 v[7:8], 1, v[5:6]
	v_mul_lo_u32 v5, v0, s11
	v_add_co_u32_e32 v7, vcc, s6, v7
	v_addc_co_u32_e32 v8, vcc, v9, v8, vcc
	v_lshlrev_b64 v[5:6], 1, v[5:6]
	v_add_co_u32_e32 v5, vcc, v7, v5
	v_addc_co_u32_e32 v6, vcc, v8, v6, vcc
	global_load_ushort v5, v[5:6], off
	s_waitcnt vmcnt(0)
	v_cvt_f32_f16_e32 v5, v5
.LBB114_3:
	v_mul_hi_u32 v6, s19, v4
	v_mul_hi_u32 v7, s22, v3
	;; [unrolled: 1-line block ×4, first 2 shown]
	v_add_u32_e32 v6, v4, v6
	v_add_u32_e32 v7, v3, v7
	v_add_u32_e32 v8, v1, v8
	v_lshrrev_b32_e32 v6, s20, v6
	v_lshrrev_b32_e32 v7, s23, v7
	v_lshrrev_b32_e32 v8, s26, v8
	v_add_u32_e32 v9, v0, v9
	v_mul_lo_u32 v6, v6, s21
	v_mul_lo_u32 v7, v7, s24
	;; [unrolled: 1-line block ×3, first 2 shown]
	v_lshrrev_b32_e32 v9, s17, v9
	v_mul_lo_u32 v9, v9, s18
	v_sub_u32_e32 v6, v4, v6
	v_sub_u32_e32 v7, v3, v7
	;; [unrolled: 1-line block ×3, first 2 shown]
	v_mul_lo_u32 v8, v8, s2
	v_mul_lo_u32 v7, v7, s1
	;; [unrolled: 1-line block ×3, first 2 shown]
	v_sub_u32_e32 v9, v0, v9
	v_mul_lo_u32 v9, v9, s15
	s_load_dwordx8 s[12:19], s[4:5], 0xb8
	v_add3_u32 v6, v7, v8, v6
	v_ashrrev_i32_e32 v7, 31, v6
	v_ashrrev_i32_e32 v8, 31, v9
	v_add_co_u32_e32 v6, vcc, v9, v6
	v_addc_co_u32_e32 v7, vcc, v8, v7, vcc
	v_lshlrev_b64 v[6:7], 1, v[6:7]
	s_waitcnt lgkmcnt(0)
	v_mov_b32_e32 v9, s13
	v_add_co_u32_e32 v8, vcc, s12, v6
	v_addc_co_u32_e32 v9, vcc, v9, v7, vcc
	global_load_ushort v10, v[8:9], off
	v_mov_b32_e32 v9, s15
	v_add_co_u32_e32 v8, vcc, s14, v6
	v_addc_co_u32_e32 v9, vcc, v9, v7, vcc
	global_load_ushort v11, v[8:9], off
	;; [unrolled: 4-line block ×4, first 2 shown]
	v_mul_lo_u32 v7, v1, s10
	v_mul_lo_u32 v9, v3, s9
	;; [unrolled: 1-line block ×3, first 2 shown]
	s_load_dwordx2 s[0:1], s[4:5], 0x10
	v_mov_b32_e32 v1, v2
	v_lshlrev_b64 v[3:4], 1, v[0:1]
	v_add3_u32 v1, v9, v7, v12
	v_lshlrev_b64 v[0:1], 1, v[1:2]
	s_waitcnt lgkmcnt(0)
	v_mov_b32_e32 v2, s1
	v_add_co_u32_e32 v0, vcc, s0, v0
	v_addc_co_u32_e32 v1, vcc, v2, v1, vcc
	v_add_co_u32_e32 v0, vcc, v0, v3
	v_addc_co_u32_e32 v1, vcc, v1, v4, vcc
	s_waitcnt vmcnt(3)
	v_cvt_f32_f16_e32 v7, v10
	v_mul_f32_e32 v2, v5, v7
	s_waitcnt vmcnt(2)
	v_cvt_f32_f16_e32 v9, v11
	v_mul_f32_e32 v2, v2, v9
	;; [unrolled: 3-line block ×3, first 2 shown]
	s_waitcnt vmcnt(0)
	v_fma_mixlo_f16 v2, v2, v6, 0 op_sel_hi:[0,1,0]
	global_store_short v[0:1], v2, off
.LBB114_4:
	s_endpgm
	.section	.rodata,"a",@progbits
	.p2align	6, 0x0
	.amdhsa_kernel _ZL19k_bin_bcast_unravelIXadL_ZL6op_mulffEE6__halfS0_S0_JPKS0_S2_S2_S2_EEvPKT0_PKT1_PT2_15HIP_vector_typeIjLj3EESC_SC_jSC_SC_SC_SC_SC_SC_iiiiiiiiiiiDpT3_
		.amdhsa_group_segment_fixed_size 0
		.amdhsa_private_segment_fixed_size 0
		.amdhsa_kernarg_size 472
		.amdhsa_user_sgpr_count 6
		.amdhsa_user_sgpr_private_segment_buffer 1
		.amdhsa_user_sgpr_dispatch_ptr 0
		.amdhsa_user_sgpr_queue_ptr 0
		.amdhsa_user_sgpr_kernarg_segment_ptr 1
		.amdhsa_user_sgpr_dispatch_id 0
		.amdhsa_user_sgpr_flat_scratch_init 0
		.amdhsa_user_sgpr_private_segment_size 0
		.amdhsa_uses_dynamic_stack 0
		.amdhsa_system_sgpr_private_segment_wavefront_offset 0
		.amdhsa_system_sgpr_workgroup_id_x 1
		.amdhsa_system_sgpr_workgroup_id_y 0
		.amdhsa_system_sgpr_workgroup_id_z 0
		.amdhsa_system_sgpr_workgroup_info 0
		.amdhsa_system_vgpr_workitem_id 0
		.amdhsa_next_free_vgpr 13
		.amdhsa_next_free_sgpr 28
		.amdhsa_reserve_vcc 1
		.amdhsa_reserve_flat_scratch 0
		.amdhsa_float_round_mode_32 0
		.amdhsa_float_round_mode_16_64 0
		.amdhsa_float_denorm_mode_32 3
		.amdhsa_float_denorm_mode_16_64 3
		.amdhsa_dx10_clamp 1
		.amdhsa_ieee_mode 1
		.amdhsa_fp16_overflow 0
		.amdhsa_exception_fp_ieee_invalid_op 0
		.amdhsa_exception_fp_denorm_src 0
		.amdhsa_exception_fp_ieee_div_zero 0
		.amdhsa_exception_fp_ieee_overflow 0
		.amdhsa_exception_fp_ieee_underflow 0
		.amdhsa_exception_fp_ieee_inexact 0
		.amdhsa_exception_int_div_zero 0
	.end_amdhsa_kernel
	.section	.text._ZL19k_bin_bcast_unravelIXadL_ZL6op_mulffEE6__halfS0_S0_JPKS0_S2_S2_S2_EEvPKT0_PKT1_PT2_15HIP_vector_typeIjLj3EESC_SC_jSC_SC_SC_SC_SC_SC_iiiiiiiiiiiDpT3_,"axG",@progbits,_ZL19k_bin_bcast_unravelIXadL_ZL6op_mulffEE6__halfS0_S0_JPKS0_S2_S2_S2_EEvPKT0_PKT1_PT2_15HIP_vector_typeIjLj3EESC_SC_jSC_SC_SC_SC_SC_SC_iiiiiiiiiiiDpT3_,comdat
.Lfunc_end114:
	.size	_ZL19k_bin_bcast_unravelIXadL_ZL6op_mulffEE6__halfS0_S0_JPKS0_S2_S2_S2_EEvPKT0_PKT1_PT2_15HIP_vector_typeIjLj3EESC_SC_jSC_SC_SC_SC_SC_SC_iiiiiiiiiiiDpT3_, .Lfunc_end114-_ZL19k_bin_bcast_unravelIXadL_ZL6op_mulffEE6__halfS0_S0_JPKS0_S2_S2_S2_EEvPKT0_PKT1_PT2_15HIP_vector_typeIjLj3EESC_SC_jSC_SC_SC_SC_SC_SC_iiiiiiiiiiiDpT3_
                                        ; -- End function
	.set _ZL19k_bin_bcast_unravelIXadL_ZL6op_mulffEE6__halfS0_S0_JPKS0_S2_S2_S2_EEvPKT0_PKT1_PT2_15HIP_vector_typeIjLj3EESC_SC_jSC_SC_SC_SC_SC_SC_iiiiiiiiiiiDpT3_.num_vgpr, 13
	.set _ZL19k_bin_bcast_unravelIXadL_ZL6op_mulffEE6__halfS0_S0_JPKS0_S2_S2_S2_EEvPKT0_PKT1_PT2_15HIP_vector_typeIjLj3EESC_SC_jSC_SC_SC_SC_SC_SC_iiiiiiiiiiiDpT3_.num_agpr, 0
	.set _ZL19k_bin_bcast_unravelIXadL_ZL6op_mulffEE6__halfS0_S0_JPKS0_S2_S2_S2_EEvPKT0_PKT1_PT2_15HIP_vector_typeIjLj3EESC_SC_jSC_SC_SC_SC_SC_SC_iiiiiiiiiiiDpT3_.numbered_sgpr, 28
	.set _ZL19k_bin_bcast_unravelIXadL_ZL6op_mulffEE6__halfS0_S0_JPKS0_S2_S2_S2_EEvPKT0_PKT1_PT2_15HIP_vector_typeIjLj3EESC_SC_jSC_SC_SC_SC_SC_SC_iiiiiiiiiiiDpT3_.num_named_barrier, 0
	.set _ZL19k_bin_bcast_unravelIXadL_ZL6op_mulffEE6__halfS0_S0_JPKS0_S2_S2_S2_EEvPKT0_PKT1_PT2_15HIP_vector_typeIjLj3EESC_SC_jSC_SC_SC_SC_SC_SC_iiiiiiiiiiiDpT3_.private_seg_size, 0
	.set _ZL19k_bin_bcast_unravelIXadL_ZL6op_mulffEE6__halfS0_S0_JPKS0_S2_S2_S2_EEvPKT0_PKT1_PT2_15HIP_vector_typeIjLj3EESC_SC_jSC_SC_SC_SC_SC_SC_iiiiiiiiiiiDpT3_.uses_vcc, 1
	.set _ZL19k_bin_bcast_unravelIXadL_ZL6op_mulffEE6__halfS0_S0_JPKS0_S2_S2_S2_EEvPKT0_PKT1_PT2_15HIP_vector_typeIjLj3EESC_SC_jSC_SC_SC_SC_SC_SC_iiiiiiiiiiiDpT3_.uses_flat_scratch, 0
	.set _ZL19k_bin_bcast_unravelIXadL_ZL6op_mulffEE6__halfS0_S0_JPKS0_S2_S2_S2_EEvPKT0_PKT1_PT2_15HIP_vector_typeIjLj3EESC_SC_jSC_SC_SC_SC_SC_SC_iiiiiiiiiiiDpT3_.has_dyn_sized_stack, 0
	.set _ZL19k_bin_bcast_unravelIXadL_ZL6op_mulffEE6__halfS0_S0_JPKS0_S2_S2_S2_EEvPKT0_PKT1_PT2_15HIP_vector_typeIjLj3EESC_SC_jSC_SC_SC_SC_SC_SC_iiiiiiiiiiiDpT3_.has_recursion, 0
	.set _ZL19k_bin_bcast_unravelIXadL_ZL6op_mulffEE6__halfS0_S0_JPKS0_S2_S2_S2_EEvPKT0_PKT1_PT2_15HIP_vector_typeIjLj3EESC_SC_jSC_SC_SC_SC_SC_SC_iiiiiiiiiiiDpT3_.has_indirect_call, 0
	.section	.AMDGPU.csdata,"",@progbits
; Kernel info:
; codeLenInByte = 756
; TotalNumSgprs: 32
; NumVgprs: 13
; ScratchSize: 0
; MemoryBound: 0
; FloatMode: 240
; IeeeMode: 1
; LDSByteSize: 0 bytes/workgroup (compile time only)
; SGPRBlocks: 3
; VGPRBlocks: 3
; NumSGPRsForWavesPerEU: 32
; NumVGPRsForWavesPerEU: 13
; Occupancy: 10
; WaveLimiterHint : 1
; COMPUTE_PGM_RSRC2:SCRATCH_EN: 0
; COMPUTE_PGM_RSRC2:USER_SGPR: 6
; COMPUTE_PGM_RSRC2:TRAP_HANDLER: 0
; COMPUTE_PGM_RSRC2:TGID_X_EN: 1
; COMPUTE_PGM_RSRC2:TGID_Y_EN: 0
; COMPUTE_PGM_RSRC2:TGID_Z_EN: 0
; COMPUTE_PGM_RSRC2:TIDIG_COMP_CNT: 0
	.section	.text._ZL11k_bin_bcastIXadL_ZL6op_mulffEE6__halfS0_S0_JPKS0_S2_S2_S2_EEvPKT0_PKT1_PT2_iii15HIP_vector_typeIjLj3EESC_SC_SC_SC_iiiiiiiiiiiDpT3_,"axG",@progbits,_ZL11k_bin_bcastIXadL_ZL6op_mulffEE6__halfS0_S0_JPKS0_S2_S2_S2_EEvPKT0_PKT1_PT2_iii15HIP_vector_typeIjLj3EESC_SC_SC_SC_iiiiiiiiiiiDpT3_,comdat
	.globl	_ZL11k_bin_bcastIXadL_ZL6op_mulffEE6__halfS0_S0_JPKS0_S2_S2_S2_EEvPKT0_PKT1_PT2_iii15HIP_vector_typeIjLj3EESC_SC_SC_SC_iiiiiiiiiiiDpT3_ ; -- Begin function _ZL11k_bin_bcastIXadL_ZL6op_mulffEE6__halfS0_S0_JPKS0_S2_S2_S2_EEvPKT0_PKT1_PT2_iii15HIP_vector_typeIjLj3EESC_SC_SC_SC_iiiiiiiiiiiDpT3_
	.p2align	8
	.type	_ZL11k_bin_bcastIXadL_ZL6op_mulffEE6__halfS0_S0_JPKS0_S2_S2_S2_EEvPKT0_PKT1_PT2_iii15HIP_vector_typeIjLj3EESC_SC_SC_SC_iiiiiiiiiiiDpT3_,@function
_ZL11k_bin_bcastIXadL_ZL6op_mulffEE6__halfS0_S0_JPKS0_S2_S2_S2_EEvPKT0_PKT1_PT2_iii15HIP_vector_typeIjLj3EESC_SC_SC_SC_iiiiiiiiiiiDpT3_: ; @_ZL11k_bin_bcastIXadL_ZL6op_mulffEE6__halfS0_S0_JPKS0_S2_S2_S2_EEvPKT0_PKT1_PT2_iii15HIP_vector_typeIjLj3EESC_SC_SC_SC_iiiiiiiiiiiDpT3_
; %bb.0:
	s_load_dwordx2 s[0:1], s[4:5], 0xbc
	s_load_dwordx8 s[12:19], s[4:5], 0x18
	s_add_u32 s2, s4, 0xb0
	s_addc_u32 s3, s5, 0
	s_waitcnt lgkmcnt(0)
	s_and_b32 s1, s1, 0xffff
	s_mul_i32 s8, s8, s1
	v_add_u32_e32 v3, s8, v2
	v_mul_hi_u32 v2, v3, s15
	s_lshr_b32 s1, s0, 16
	s_and_b32 s8, s0, 0xffff
	s_mul_i32 s6, s6, s8
	v_add_u32_e32 v2, v3, v2
	v_lshrrev_b32_e32 v2, s16, v2
	v_mul_lo_u32 v4, v2, s17
	s_mul_i32 s7, s7, s1
	v_add_u32_e32 v0, s6, v0
	v_add_u32_e32 v1, s7, v1
	v_cmp_gt_u32_e32 vcc, s12, v0
	v_cmp_gt_u32_e64 s[0:1], s13, v1
	v_sub_u32_e32 v3, v3, v4
	s_and_b64 s[0:1], vcc, s[0:1]
	v_cmp_gt_u32_e32 vcc, s14, v2
	s_and_b64 s[0:1], s[0:1], vcc
	v_cmp_gt_u32_e32 vcc, s17, v3
	s_and_b64 s[0:1], s[0:1], vcc
	s_and_saveexec_b64 s[6:7], s[0:1]
	s_cbranch_execz .LBB115_6
; %bb.1:
	v_cmp_gt_i32_e32 vcc, s12, v0
	s_and_b64 exec, exec, vcc
	s_cbranch_execz .LBB115_6
; %bb.2:
	s_load_dwordx8 s[36:43], s[4:5], 0x3c
	s_load_dwordx8 s[20:27], s[4:5], 0x60
	s_load_dwordx4 s[28:31], s[4:5], 0x80
	s_load_dword s6, s[2:3], 0x0
	s_load_dword s0, s[4:5], 0x5c
	s_waitcnt lgkmcnt(0)
	v_mul_hi_u32 v4, s36, v1
	v_mul_hi_u32 v5, s39, v2
	;; [unrolled: 1-line block ×3, first 2 shown]
	v_mul_lo_u32 v7, v3, s26
	v_add_u32_e32 v4, v1, v4
	v_add_u32_e32 v5, v2, v5
	;; [unrolled: 1-line block ×3, first 2 shown]
	v_lshrrev_b32_e32 v4, s37, v4
	v_lshrrev_b32_e32 v5, s40, v5
	;; [unrolled: 1-line block ×3, first 2 shown]
	v_mul_lo_u32 v4, v4, s38
	v_mul_lo_u32 v5, v5, s41
	;; [unrolled: 1-line block ×5, first 2 shown]
	v_sub_u32_e32 v4, v1, v4
	v_sub_u32_e32 v5, v2, v5
	;; [unrolled: 1-line block ×3, first 2 shown]
	s_load_dword s9, s[4:5], 0x38
	s_load_dwordx2 s[0:1], s[4:5], 0x0
	s_load_dwordx2 s[2:3], s[4:5], 0x10
	v_mul_lo_u32 v6, v6, s30
	v_mul_lo_u32 v5, v5, s29
	;; [unrolled: 1-line block ×6, first 2 shown]
	v_add3_u32 v1, v8, v9, v7
	v_mov_b32_e32 v2, 0
	v_mov_b32_e32 v8, v2
	v_lshlrev_b64 v[1:2], 1, v[1:2]
	v_add3_u32 v4, v5, v6, v4
	v_add3_u32 v7, v10, v11, v3
	s_waitcnt lgkmcnt(0)
	v_mov_b32_e32 v3, s1
	v_add_co_u32_e32 v5, vcc, s0, v1
	v_addc_co_u32_e32 v6, vcc, v3, v2, vcc
	v_lshlrev_b64 v[1:2], 1, v[7:8]
	s_load_dwordx8 s[36:43], s[4:5], 0x90
	v_mov_b32_e32 v3, s3
	v_add_co_u32_e32 v7, vcc, s2, v1
	v_addc_co_u32_e32 v8, vcc, v3, v2, vcc
	s_cmp_lg_u64 s[0:1], 0
	v_mul_lo_u32 v2, s23, v0
	s_cselect_b64 s[0:1], -1, 0
	s_mul_i32 s6, s6, s8
	v_cndmask_b32_e64 v1, 0, 1, s[0:1]
	s_mov_b64 s[4:5], 0
	s_mul_i32 s7, s6, s23
	s_sub_i32 s8, 0, s9
	v_cmp_ne_u32_e64 s[0:1], 1, v1
	s_waitcnt lgkmcnt(0)
	v_mov_b32_e32 v9, s37
	v_mov_b32_e32 v10, s39
	v_mov_b32_e32 v11, s41
	v_mov_b32_e32 v12, s43
	s_branch .LBB115_4
.LBB115_3:                              ;   in Loop: Header=BB115_4 Depth=1
	v_mul_hi_u32 v1, s18, v0
	v_add_u32_e32 v2, s7, v2
	v_add_u32_e32 v1, v0, v1
	v_lshrrev_b32_e32 v1, s19, v1
	v_mad_u64_u32 v[13:14], s[2:3], s8, v1, v[0:1]
	v_mul_lo_u32 v1, v13, s27
	v_add_co_u32_e32 v13, vcc, v1, v4
	v_addc_co_u32_e64 v14, s[2:3], 0, 0, vcc
	v_lshlrev_b64 v[13:14], 1, v[13:14]
	v_ashrrev_i32_e32 v1, 31, v0
	v_add_co_u32_e32 v15, vcc, s36, v13
	v_addc_co_u32_e32 v16, vcc, v9, v14, vcc
	global_load_ushort v17, v[15:16], off
	v_add_co_u32_e32 v15, vcc, s38, v13
	v_addc_co_u32_e32 v16, vcc, v10, v14, vcc
	global_load_ushort v18, v[15:16], off
	;; [unrolled: 3-line block ×4, first 2 shown]
	v_lshlrev_b64 v[13:14], 1, v[0:1]
	v_add_u32_e32 v0, s6, v0
	v_cmp_le_i32_e32 vcc, s12, v0
	v_add_co_u32_e64 v13, s[2:3], v7, v13
	v_addc_co_u32_e64 v14, s[2:3], v8, v14, s[2:3]
	s_or_b64 s[4:5], vcc, s[4:5]
	s_waitcnt vmcnt(3)
	v_cvt_f32_f16_e32 v1, v17
	v_mul_f32_e32 v1, v3, v1
	s_waitcnt vmcnt(2)
	v_cvt_f32_f16_e32 v17, v18
	v_mul_f32_e32 v1, v1, v17
	;; [unrolled: 3-line block ×3, first 2 shown]
	s_waitcnt vmcnt(0)
	v_fma_mixlo_f16 v1, v1, v16, 0 op_sel_hi:[0,1,0]
	global_store_short v[13:14], v1, off
	s_andn2_b64 exec, exec, s[4:5]
	s_cbranch_execz .LBB115_6
.LBB115_4:                              ; =>This Inner Loop Header: Depth=1
	s_and_b64 vcc, exec, s[0:1]
	v_mov_b32_e32 v3, 0
	s_cbranch_vccnz .LBB115_3
; %bb.5:                                ;   in Loop: Header=BB115_4 Depth=1
	v_ashrrev_i32_e32 v3, 31, v2
	v_lshlrev_b64 v[13:14], 1, v[2:3]
	v_add_co_u32_e32 v13, vcc, v5, v13
	v_addc_co_u32_e32 v14, vcc, v6, v14, vcc
	global_load_ushort v1, v[13:14], off
	s_waitcnt vmcnt(0)
	v_cvt_f32_f16_e32 v3, v1
	s_branch .LBB115_3
.LBB115_6:
	s_endpgm
	.section	.rodata,"a",@progbits
	.p2align	6, 0x0
	.amdhsa_kernel _ZL11k_bin_bcastIXadL_ZL6op_mulffEE6__halfS0_S0_JPKS0_S2_S2_S2_EEvPKT0_PKT1_PT2_iii15HIP_vector_typeIjLj3EESC_SC_SC_SC_iiiiiiiiiiiDpT3_
		.amdhsa_group_segment_fixed_size 0
		.amdhsa_private_segment_fixed_size 0
		.amdhsa_kernarg_size 432
		.amdhsa_user_sgpr_count 6
		.amdhsa_user_sgpr_private_segment_buffer 1
		.amdhsa_user_sgpr_dispatch_ptr 0
		.amdhsa_user_sgpr_queue_ptr 0
		.amdhsa_user_sgpr_kernarg_segment_ptr 1
		.amdhsa_user_sgpr_dispatch_id 0
		.amdhsa_user_sgpr_flat_scratch_init 0
		.amdhsa_user_sgpr_private_segment_size 0
		.amdhsa_uses_dynamic_stack 0
		.amdhsa_system_sgpr_private_segment_wavefront_offset 0
		.amdhsa_system_sgpr_workgroup_id_x 1
		.amdhsa_system_sgpr_workgroup_id_y 1
		.amdhsa_system_sgpr_workgroup_id_z 1
		.amdhsa_system_sgpr_workgroup_info 0
		.amdhsa_system_vgpr_workitem_id 2
		.amdhsa_next_free_vgpr 19
		.amdhsa_next_free_sgpr 44
		.amdhsa_reserve_vcc 1
		.amdhsa_reserve_flat_scratch 0
		.amdhsa_float_round_mode_32 0
		.amdhsa_float_round_mode_16_64 0
		.amdhsa_float_denorm_mode_32 3
		.amdhsa_float_denorm_mode_16_64 3
		.amdhsa_dx10_clamp 1
		.amdhsa_ieee_mode 1
		.amdhsa_fp16_overflow 0
		.amdhsa_exception_fp_ieee_invalid_op 0
		.amdhsa_exception_fp_denorm_src 0
		.amdhsa_exception_fp_ieee_div_zero 0
		.amdhsa_exception_fp_ieee_overflow 0
		.amdhsa_exception_fp_ieee_underflow 0
		.amdhsa_exception_fp_ieee_inexact 0
		.amdhsa_exception_int_div_zero 0
	.end_amdhsa_kernel
	.section	.text._ZL11k_bin_bcastIXadL_ZL6op_mulffEE6__halfS0_S0_JPKS0_S2_S2_S2_EEvPKT0_PKT1_PT2_iii15HIP_vector_typeIjLj3EESC_SC_SC_SC_iiiiiiiiiiiDpT3_,"axG",@progbits,_ZL11k_bin_bcastIXadL_ZL6op_mulffEE6__halfS0_S0_JPKS0_S2_S2_S2_EEvPKT0_PKT1_PT2_iii15HIP_vector_typeIjLj3EESC_SC_SC_SC_iiiiiiiiiiiDpT3_,comdat
.Lfunc_end115:
	.size	_ZL11k_bin_bcastIXadL_ZL6op_mulffEE6__halfS0_S0_JPKS0_S2_S2_S2_EEvPKT0_PKT1_PT2_iii15HIP_vector_typeIjLj3EESC_SC_SC_SC_iiiiiiiiiiiDpT3_, .Lfunc_end115-_ZL11k_bin_bcastIXadL_ZL6op_mulffEE6__halfS0_S0_JPKS0_S2_S2_S2_EEvPKT0_PKT1_PT2_iii15HIP_vector_typeIjLj3EESC_SC_SC_SC_iiiiiiiiiiiDpT3_
                                        ; -- End function
	.set _ZL11k_bin_bcastIXadL_ZL6op_mulffEE6__halfS0_S0_JPKS0_S2_S2_S2_EEvPKT0_PKT1_PT2_iii15HIP_vector_typeIjLj3EESC_SC_SC_SC_iiiiiiiiiiiDpT3_.num_vgpr, 19
	.set _ZL11k_bin_bcastIXadL_ZL6op_mulffEE6__halfS0_S0_JPKS0_S2_S2_S2_EEvPKT0_PKT1_PT2_iii15HIP_vector_typeIjLj3EESC_SC_SC_SC_iiiiiiiiiiiDpT3_.num_agpr, 0
	.set _ZL11k_bin_bcastIXadL_ZL6op_mulffEE6__halfS0_S0_JPKS0_S2_S2_S2_EEvPKT0_PKT1_PT2_iii15HIP_vector_typeIjLj3EESC_SC_SC_SC_iiiiiiiiiiiDpT3_.numbered_sgpr, 44
	.set _ZL11k_bin_bcastIXadL_ZL6op_mulffEE6__halfS0_S0_JPKS0_S2_S2_S2_EEvPKT0_PKT1_PT2_iii15HIP_vector_typeIjLj3EESC_SC_SC_SC_iiiiiiiiiiiDpT3_.num_named_barrier, 0
	.set _ZL11k_bin_bcastIXadL_ZL6op_mulffEE6__halfS0_S0_JPKS0_S2_S2_S2_EEvPKT0_PKT1_PT2_iii15HIP_vector_typeIjLj3EESC_SC_SC_SC_iiiiiiiiiiiDpT3_.private_seg_size, 0
	.set _ZL11k_bin_bcastIXadL_ZL6op_mulffEE6__halfS0_S0_JPKS0_S2_S2_S2_EEvPKT0_PKT1_PT2_iii15HIP_vector_typeIjLj3EESC_SC_SC_SC_iiiiiiiiiiiDpT3_.uses_vcc, 1
	.set _ZL11k_bin_bcastIXadL_ZL6op_mulffEE6__halfS0_S0_JPKS0_S2_S2_S2_EEvPKT0_PKT1_PT2_iii15HIP_vector_typeIjLj3EESC_SC_SC_SC_iiiiiiiiiiiDpT3_.uses_flat_scratch, 0
	.set _ZL11k_bin_bcastIXadL_ZL6op_mulffEE6__halfS0_S0_JPKS0_S2_S2_S2_EEvPKT0_PKT1_PT2_iii15HIP_vector_typeIjLj3EESC_SC_SC_SC_iiiiiiiiiiiDpT3_.has_dyn_sized_stack, 0
	.set _ZL11k_bin_bcastIXadL_ZL6op_mulffEE6__halfS0_S0_JPKS0_S2_S2_S2_EEvPKT0_PKT1_PT2_iii15HIP_vector_typeIjLj3EESC_SC_SC_SC_iiiiiiiiiiiDpT3_.has_recursion, 0
	.set _ZL11k_bin_bcastIXadL_ZL6op_mulffEE6__halfS0_S0_JPKS0_S2_S2_S2_EEvPKT0_PKT1_PT2_iii15HIP_vector_typeIjLj3EESC_SC_SC_SC_iiiiiiiiiiiDpT3_.has_indirect_call, 0
	.section	.AMDGPU.csdata,"",@progbits
; Kernel info:
; codeLenInByte = 816
; TotalNumSgprs: 48
; NumVgprs: 19
; ScratchSize: 0
; MemoryBound: 0
; FloatMode: 240
; IeeeMode: 1
; LDSByteSize: 0 bytes/workgroup (compile time only)
; SGPRBlocks: 5
; VGPRBlocks: 4
; NumSGPRsForWavesPerEU: 48
; NumVGPRsForWavesPerEU: 19
; Occupancy: 10
; WaveLimiterHint : 1
; COMPUTE_PGM_RSRC2:SCRATCH_EN: 0
; COMPUTE_PGM_RSRC2:USER_SGPR: 6
; COMPUTE_PGM_RSRC2:TRAP_HANDLER: 0
; COMPUTE_PGM_RSRC2:TGID_X_EN: 1
; COMPUTE_PGM_RSRC2:TGID_Y_EN: 1
; COMPUTE_PGM_RSRC2:TGID_Z_EN: 1
; COMPUTE_PGM_RSRC2:TIDIG_COMP_CNT: 2
	.section	.text._ZL19k_bin_bcast_unravelIXadL_ZL6op_mulffEE6__halffS0_JPKfS2_S2_S2_EEvPKT0_PKT1_PT2_15HIP_vector_typeIjLj3EESC_SC_jSC_SC_SC_SC_SC_SC_iiiiiiiiiiiDpT3_,"axG",@progbits,_ZL19k_bin_bcast_unravelIXadL_ZL6op_mulffEE6__halffS0_JPKfS2_S2_S2_EEvPKT0_PKT1_PT2_15HIP_vector_typeIjLj3EESC_SC_jSC_SC_SC_SC_SC_SC_iiiiiiiiiiiDpT3_,comdat
	.globl	_ZL19k_bin_bcast_unravelIXadL_ZL6op_mulffEE6__halffS0_JPKfS2_S2_S2_EEvPKT0_PKT1_PT2_15HIP_vector_typeIjLj3EESC_SC_jSC_SC_SC_SC_SC_SC_iiiiiiiiiiiDpT3_ ; -- Begin function _ZL19k_bin_bcast_unravelIXadL_ZL6op_mulffEE6__halffS0_JPKfS2_S2_S2_EEvPKT0_PKT1_PT2_15HIP_vector_typeIjLj3EESC_SC_jSC_SC_SC_SC_SC_SC_iiiiiiiiiiiDpT3_
	.p2align	8
	.type	_ZL19k_bin_bcast_unravelIXadL_ZL6op_mulffEE6__halffS0_JPKfS2_S2_S2_EEvPKT0_PKT1_PT2_15HIP_vector_typeIjLj3EESC_SC_jSC_SC_SC_SC_SC_SC_iiiiiiiiiiiDpT3_,@function
_ZL19k_bin_bcast_unravelIXadL_ZL6op_mulffEE6__halffS0_JPKfS2_S2_S2_EEvPKT0_PKT1_PT2_15HIP_vector_typeIjLj3EESC_SC_jSC_SC_SC_SC_SC_SC_iiiiiiiiiiiDpT3_: ; @_ZL19k_bin_bcast_unravelIXadL_ZL6op_mulffEE6__halffS0_JPKfS2_S2_S2_EEvPKT0_PKT1_PT2_15HIP_vector_typeIjLj3EESC_SC_jSC_SC_SC_SC_SC_SC_iiiiiiiiiiiDpT3_
; %bb.0:
	s_load_dword s0, s[4:5], 0xe4
	s_load_dwordx8 s[8:15], s[4:5], 0x38
	s_waitcnt lgkmcnt(0)
	s_and_b32 s0, s0, 0xffff
	s_mul_i32 s6, s6, s0
	v_add_u32_e32 v0, s6, v0
	v_mul_hi_u32 v1, v0, s10
	s_load_dwordx4 s[0:3], s[4:5], 0x18
	s_waitcnt lgkmcnt(0)
	s_load_dword s3, s[4:5], 0x2c
	v_add_u32_e32 v1, v0, v1
	v_lshrrev_b32_e32 v1, s11, v1
	v_mul_lo_u32 v2, v1, s12
	v_sub_u32_e32 v0, v0, v2
	v_mul_hi_u32 v2, v0, s13
	v_add_u32_e32 v2, v0, v2
	v_lshrrev_b32_e32 v3, s14, v2
	v_mul_lo_u32 v2, v3, s15
	v_cmp_gt_u32_e32 vcc, s8, v3
	v_sub_u32_e32 v0, v0, v2
	v_mul_hi_u32 v2, v0, s0
	v_add_u32_e32 v2, v0, v2
	v_lshrrev_b32_e32 v4, s1, v2
	v_mul_lo_u32 v2, v4, s2
	s_waitcnt lgkmcnt(0)
	v_cmp_gt_u32_e64 s[0:1], s3, v4
	v_sub_u32_e32 v0, v0, v2
	v_cmp_gt_u32_e64 s[2:3], s2, v0
	s_and_b64 s[0:1], s[2:3], s[0:1]
	s_and_b64 s[0:1], s[0:1], vcc
	v_cmp_gt_u32_e32 vcc, s9, v1
	s_and_b64 s[0:1], vcc, s[0:1]
	s_and_saveexec_b64 s[2:3], s[0:1]
	s_cbranch_execz .LBB116_4
; %bb.1:
	s_load_dwordx2 s[6:7], s[4:5], 0x0
	s_load_dwordx4 s[0:3], s[4:5], 0xa8
	s_load_dwordx8 s[8:15], s[4:5], 0x88
	s_load_dwordx4 s[24:27], s[4:5], 0x78
	s_load_dwordx8 s[16:23], s[4:5], 0x58
	v_mov_b32_e32 v2, 0
	s_waitcnt lgkmcnt(0)
	s_cmp_eq_u64 s[6:7], 0
	v_mov_b32_e32 v5, 0
	s_cbranch_scc1 .LBB116_3
; %bb.2:
	v_mul_lo_u32 v5, v1, s14
	v_mul_lo_u32 v7, v3, s13
	;; [unrolled: 1-line block ×3, first 2 shown]
	v_mov_b32_e32 v6, 0
	v_mov_b32_e32 v9, s7
	v_add3_u32 v5, v7, v5, v8
	v_lshlrev_b64 v[7:8], 1, v[5:6]
	v_mul_lo_u32 v5, v0, s11
	v_add_co_u32_e32 v7, vcc, s6, v7
	v_addc_co_u32_e32 v8, vcc, v9, v8, vcc
	v_lshlrev_b64 v[5:6], 1, v[5:6]
	v_add_co_u32_e32 v5, vcc, v7, v5
	v_addc_co_u32_e32 v6, vcc, v8, v6, vcc
	global_load_ushort v5, v[5:6], off
	s_waitcnt vmcnt(0)
	v_cvt_f32_f16_e32 v5, v5
.LBB116_3:
	v_mul_hi_u32 v6, s19, v4
	v_mul_hi_u32 v7, s22, v3
	;; [unrolled: 1-line block ×4, first 2 shown]
	v_add_u32_e32 v6, v4, v6
	v_add_u32_e32 v7, v3, v7
	;; [unrolled: 1-line block ×3, first 2 shown]
	v_lshrrev_b32_e32 v6, s20, v6
	v_lshrrev_b32_e32 v7, s23, v7
	;; [unrolled: 1-line block ×3, first 2 shown]
	v_add_u32_e32 v9, v0, v9
	v_mul_lo_u32 v6, v6, s21
	v_mul_lo_u32 v7, v7, s24
	;; [unrolled: 1-line block ×3, first 2 shown]
	v_lshrrev_b32_e32 v9, s17, v9
	v_mul_lo_u32 v9, v9, s18
	v_sub_u32_e32 v6, v4, v6
	v_sub_u32_e32 v7, v3, v7
	;; [unrolled: 1-line block ×3, first 2 shown]
	v_mul_lo_u32 v8, v8, s2
	v_mul_lo_u32 v7, v7, s1
	;; [unrolled: 1-line block ×3, first 2 shown]
	v_sub_u32_e32 v9, v0, v9
	v_mul_lo_u32 v9, v9, s15
	s_load_dwordx8 s[12:19], s[4:5], 0xb8
	v_add3_u32 v6, v7, v8, v6
	v_ashrrev_i32_e32 v7, 31, v6
	v_ashrrev_i32_e32 v8, 31, v9
	v_add_co_u32_e32 v6, vcc, v9, v6
	v_addc_co_u32_e32 v7, vcc, v8, v7, vcc
	v_lshlrev_b64 v[6:7], 2, v[6:7]
	s_waitcnt lgkmcnt(0)
	v_mov_b32_e32 v9, s13
	v_add_co_u32_e32 v8, vcc, s12, v6
	v_addc_co_u32_e32 v9, vcc, v9, v7, vcc
	global_load_dword v10, v[8:9], off
	v_mov_b32_e32 v9, s15
	v_add_co_u32_e32 v8, vcc, s14, v6
	v_addc_co_u32_e32 v9, vcc, v9, v7, vcc
	global_load_dword v11, v[8:9], off
	;; [unrolled: 4-line block ×4, first 2 shown]
	v_mul_lo_u32 v7, v1, s10
	v_mul_lo_u32 v9, v3, s9
	;; [unrolled: 1-line block ×3, first 2 shown]
	s_load_dwordx2 s[0:1], s[4:5], 0x10
	v_mov_b32_e32 v1, v2
	v_lshlrev_b64 v[3:4], 1, v[0:1]
	v_add3_u32 v1, v9, v7, v12
	v_lshlrev_b64 v[0:1], 1, v[1:2]
	s_waitcnt lgkmcnt(0)
	v_mov_b32_e32 v2, s1
	v_add_co_u32_e32 v0, vcc, s0, v0
	v_addc_co_u32_e32 v1, vcc, v2, v1, vcc
	v_add_co_u32_e32 v0, vcc, v0, v3
	v_addc_co_u32_e32 v1, vcc, v1, v4, vcc
	s_waitcnt vmcnt(3)
	v_mul_f32_e32 v2, v5, v10
	s_waitcnt vmcnt(2)
	v_mul_f32_e32 v2, v2, v11
	;; [unrolled: 2-line block ×3, first 2 shown]
	s_waitcnt vmcnt(0)
	v_fma_mixlo_f16 v2, v2, v6, 0
	global_store_short v[0:1], v2, off
.LBB116_4:
	s_endpgm
	.section	.rodata,"a",@progbits
	.p2align	6, 0x0
	.amdhsa_kernel _ZL19k_bin_bcast_unravelIXadL_ZL6op_mulffEE6__halffS0_JPKfS2_S2_S2_EEvPKT0_PKT1_PT2_15HIP_vector_typeIjLj3EESC_SC_jSC_SC_SC_SC_SC_SC_iiiiiiiiiiiDpT3_
		.amdhsa_group_segment_fixed_size 0
		.amdhsa_private_segment_fixed_size 0
		.amdhsa_kernarg_size 472
		.amdhsa_user_sgpr_count 6
		.amdhsa_user_sgpr_private_segment_buffer 1
		.amdhsa_user_sgpr_dispatch_ptr 0
		.amdhsa_user_sgpr_queue_ptr 0
		.amdhsa_user_sgpr_kernarg_segment_ptr 1
		.amdhsa_user_sgpr_dispatch_id 0
		.amdhsa_user_sgpr_flat_scratch_init 0
		.amdhsa_user_sgpr_private_segment_size 0
		.amdhsa_uses_dynamic_stack 0
		.amdhsa_system_sgpr_private_segment_wavefront_offset 0
		.amdhsa_system_sgpr_workgroup_id_x 1
		.amdhsa_system_sgpr_workgroup_id_y 0
		.amdhsa_system_sgpr_workgroup_id_z 0
		.amdhsa_system_sgpr_workgroup_info 0
		.amdhsa_system_vgpr_workitem_id 0
		.amdhsa_next_free_vgpr 13
		.amdhsa_next_free_sgpr 28
		.amdhsa_reserve_vcc 1
		.amdhsa_reserve_flat_scratch 0
		.amdhsa_float_round_mode_32 0
		.amdhsa_float_round_mode_16_64 0
		.amdhsa_float_denorm_mode_32 3
		.amdhsa_float_denorm_mode_16_64 3
		.amdhsa_dx10_clamp 1
		.amdhsa_ieee_mode 1
		.amdhsa_fp16_overflow 0
		.amdhsa_exception_fp_ieee_invalid_op 0
		.amdhsa_exception_fp_denorm_src 0
		.amdhsa_exception_fp_ieee_div_zero 0
		.amdhsa_exception_fp_ieee_overflow 0
		.amdhsa_exception_fp_ieee_underflow 0
		.amdhsa_exception_fp_ieee_inexact 0
		.amdhsa_exception_int_div_zero 0
	.end_amdhsa_kernel
	.section	.text._ZL19k_bin_bcast_unravelIXadL_ZL6op_mulffEE6__halffS0_JPKfS2_S2_S2_EEvPKT0_PKT1_PT2_15HIP_vector_typeIjLj3EESC_SC_jSC_SC_SC_SC_SC_SC_iiiiiiiiiiiDpT3_,"axG",@progbits,_ZL19k_bin_bcast_unravelIXadL_ZL6op_mulffEE6__halffS0_JPKfS2_S2_S2_EEvPKT0_PKT1_PT2_15HIP_vector_typeIjLj3EESC_SC_jSC_SC_SC_SC_SC_SC_iiiiiiiiiiiDpT3_,comdat
.Lfunc_end116:
	.size	_ZL19k_bin_bcast_unravelIXadL_ZL6op_mulffEE6__halffS0_JPKfS2_S2_S2_EEvPKT0_PKT1_PT2_15HIP_vector_typeIjLj3EESC_SC_jSC_SC_SC_SC_SC_SC_iiiiiiiiiiiDpT3_, .Lfunc_end116-_ZL19k_bin_bcast_unravelIXadL_ZL6op_mulffEE6__halffS0_JPKfS2_S2_S2_EEvPKT0_PKT1_PT2_15HIP_vector_typeIjLj3EESC_SC_jSC_SC_SC_SC_SC_SC_iiiiiiiiiiiDpT3_
                                        ; -- End function
	.set _ZL19k_bin_bcast_unravelIXadL_ZL6op_mulffEE6__halffS0_JPKfS2_S2_S2_EEvPKT0_PKT1_PT2_15HIP_vector_typeIjLj3EESC_SC_jSC_SC_SC_SC_SC_SC_iiiiiiiiiiiDpT3_.num_vgpr, 13
	.set _ZL19k_bin_bcast_unravelIXadL_ZL6op_mulffEE6__halffS0_JPKfS2_S2_S2_EEvPKT0_PKT1_PT2_15HIP_vector_typeIjLj3EESC_SC_jSC_SC_SC_SC_SC_SC_iiiiiiiiiiiDpT3_.num_agpr, 0
	.set _ZL19k_bin_bcast_unravelIXadL_ZL6op_mulffEE6__halffS0_JPKfS2_S2_S2_EEvPKT0_PKT1_PT2_15HIP_vector_typeIjLj3EESC_SC_jSC_SC_SC_SC_SC_SC_iiiiiiiiiiiDpT3_.numbered_sgpr, 28
	.set _ZL19k_bin_bcast_unravelIXadL_ZL6op_mulffEE6__halffS0_JPKfS2_S2_S2_EEvPKT0_PKT1_PT2_15HIP_vector_typeIjLj3EESC_SC_jSC_SC_SC_SC_SC_SC_iiiiiiiiiiiDpT3_.num_named_barrier, 0
	.set _ZL19k_bin_bcast_unravelIXadL_ZL6op_mulffEE6__halffS0_JPKfS2_S2_S2_EEvPKT0_PKT1_PT2_15HIP_vector_typeIjLj3EESC_SC_jSC_SC_SC_SC_SC_SC_iiiiiiiiiiiDpT3_.private_seg_size, 0
	.set _ZL19k_bin_bcast_unravelIXadL_ZL6op_mulffEE6__halffS0_JPKfS2_S2_S2_EEvPKT0_PKT1_PT2_15HIP_vector_typeIjLj3EESC_SC_jSC_SC_SC_SC_SC_SC_iiiiiiiiiiiDpT3_.uses_vcc, 1
	.set _ZL19k_bin_bcast_unravelIXadL_ZL6op_mulffEE6__halffS0_JPKfS2_S2_S2_EEvPKT0_PKT1_PT2_15HIP_vector_typeIjLj3EESC_SC_jSC_SC_SC_SC_SC_SC_iiiiiiiiiiiDpT3_.uses_flat_scratch, 0
	.set _ZL19k_bin_bcast_unravelIXadL_ZL6op_mulffEE6__halffS0_JPKfS2_S2_S2_EEvPKT0_PKT1_PT2_15HIP_vector_typeIjLj3EESC_SC_jSC_SC_SC_SC_SC_SC_iiiiiiiiiiiDpT3_.has_dyn_sized_stack, 0
	.set _ZL19k_bin_bcast_unravelIXadL_ZL6op_mulffEE6__halffS0_JPKfS2_S2_S2_EEvPKT0_PKT1_PT2_15HIP_vector_typeIjLj3EESC_SC_jSC_SC_SC_SC_SC_SC_iiiiiiiiiiiDpT3_.has_recursion, 0
	.set _ZL19k_bin_bcast_unravelIXadL_ZL6op_mulffEE6__halffS0_JPKfS2_S2_S2_EEvPKT0_PKT1_PT2_15HIP_vector_typeIjLj3EESC_SC_jSC_SC_SC_SC_SC_SC_iiiiiiiiiiiDpT3_.has_indirect_call, 0
	.section	.AMDGPU.csdata,"",@progbits
; Kernel info:
; codeLenInByte = 744
; TotalNumSgprs: 32
; NumVgprs: 13
; ScratchSize: 0
; MemoryBound: 0
; FloatMode: 240
; IeeeMode: 1
; LDSByteSize: 0 bytes/workgroup (compile time only)
; SGPRBlocks: 3
; VGPRBlocks: 3
; NumSGPRsForWavesPerEU: 32
; NumVGPRsForWavesPerEU: 13
; Occupancy: 10
; WaveLimiterHint : 1
; COMPUTE_PGM_RSRC2:SCRATCH_EN: 0
; COMPUTE_PGM_RSRC2:USER_SGPR: 6
; COMPUTE_PGM_RSRC2:TRAP_HANDLER: 0
; COMPUTE_PGM_RSRC2:TGID_X_EN: 1
; COMPUTE_PGM_RSRC2:TGID_Y_EN: 0
; COMPUTE_PGM_RSRC2:TGID_Z_EN: 0
; COMPUTE_PGM_RSRC2:TIDIG_COMP_CNT: 0
	.section	.text._ZL11k_bin_bcastIXadL_ZL6op_mulffEE6__halffS0_JPKfS2_S2_S2_EEvPKT0_PKT1_PT2_iii15HIP_vector_typeIjLj3EESC_SC_SC_SC_iiiiiiiiiiiDpT3_,"axG",@progbits,_ZL11k_bin_bcastIXadL_ZL6op_mulffEE6__halffS0_JPKfS2_S2_S2_EEvPKT0_PKT1_PT2_iii15HIP_vector_typeIjLj3EESC_SC_SC_SC_iiiiiiiiiiiDpT3_,comdat
	.globl	_ZL11k_bin_bcastIXadL_ZL6op_mulffEE6__halffS0_JPKfS2_S2_S2_EEvPKT0_PKT1_PT2_iii15HIP_vector_typeIjLj3EESC_SC_SC_SC_iiiiiiiiiiiDpT3_ ; -- Begin function _ZL11k_bin_bcastIXadL_ZL6op_mulffEE6__halffS0_JPKfS2_S2_S2_EEvPKT0_PKT1_PT2_iii15HIP_vector_typeIjLj3EESC_SC_SC_SC_iiiiiiiiiiiDpT3_
	.p2align	8
	.type	_ZL11k_bin_bcastIXadL_ZL6op_mulffEE6__halffS0_JPKfS2_S2_S2_EEvPKT0_PKT1_PT2_iii15HIP_vector_typeIjLj3EESC_SC_SC_SC_iiiiiiiiiiiDpT3_,@function
_ZL11k_bin_bcastIXadL_ZL6op_mulffEE6__halffS0_JPKfS2_S2_S2_EEvPKT0_PKT1_PT2_iii15HIP_vector_typeIjLj3EESC_SC_SC_SC_iiiiiiiiiiiDpT3_: ; @_ZL11k_bin_bcastIXadL_ZL6op_mulffEE6__halffS0_JPKfS2_S2_S2_EEvPKT0_PKT1_PT2_iii15HIP_vector_typeIjLj3EESC_SC_SC_SC_iiiiiiiiiiiDpT3_
; %bb.0:
	s_load_dwordx2 s[0:1], s[4:5], 0xbc
	s_load_dwordx8 s[12:19], s[4:5], 0x18
	s_add_u32 s2, s4, 0xb0
	s_addc_u32 s3, s5, 0
	s_waitcnt lgkmcnt(0)
	s_and_b32 s1, s1, 0xffff
	s_mul_i32 s8, s8, s1
	v_add_u32_e32 v3, s8, v2
	v_mul_hi_u32 v2, v3, s15
	s_lshr_b32 s1, s0, 16
	s_and_b32 s8, s0, 0xffff
	s_mul_i32 s6, s6, s8
	v_add_u32_e32 v2, v3, v2
	v_lshrrev_b32_e32 v2, s16, v2
	v_mul_lo_u32 v4, v2, s17
	s_mul_i32 s7, s7, s1
	v_add_u32_e32 v0, s6, v0
	v_add_u32_e32 v1, s7, v1
	v_cmp_gt_u32_e32 vcc, s12, v0
	v_cmp_gt_u32_e64 s[0:1], s13, v1
	v_sub_u32_e32 v3, v3, v4
	s_and_b64 s[0:1], vcc, s[0:1]
	v_cmp_gt_u32_e32 vcc, s14, v2
	s_and_b64 s[0:1], s[0:1], vcc
	v_cmp_gt_u32_e32 vcc, s17, v3
	s_and_b64 s[0:1], s[0:1], vcc
	s_and_saveexec_b64 s[6:7], s[0:1]
	s_cbranch_execz .LBB117_6
; %bb.1:
	v_cmp_gt_i32_e32 vcc, s12, v0
	s_and_b64 exec, exec, vcc
	s_cbranch_execz .LBB117_6
; %bb.2:
	s_load_dwordx8 s[36:43], s[4:5], 0x3c
	s_load_dwordx8 s[20:27], s[4:5], 0x60
	s_load_dwordx4 s[28:31], s[4:5], 0x80
	s_load_dword s6, s[2:3], 0x0
	s_load_dword s0, s[4:5], 0x5c
	s_waitcnt lgkmcnt(0)
	v_mul_hi_u32 v4, s36, v1
	v_mul_hi_u32 v5, s39, v2
	;; [unrolled: 1-line block ×3, first 2 shown]
	v_mul_lo_u32 v7, v3, s26
	v_add_u32_e32 v4, v1, v4
	v_add_u32_e32 v5, v2, v5
	;; [unrolled: 1-line block ×3, first 2 shown]
	v_lshrrev_b32_e32 v4, s37, v4
	v_lshrrev_b32_e32 v5, s40, v5
	;; [unrolled: 1-line block ×3, first 2 shown]
	v_mul_lo_u32 v4, v4, s38
	v_mul_lo_u32 v5, v5, s41
	;; [unrolled: 1-line block ×5, first 2 shown]
	v_sub_u32_e32 v4, v1, v4
	v_sub_u32_e32 v5, v2, v5
	;; [unrolled: 1-line block ×3, first 2 shown]
	s_load_dword s9, s[4:5], 0x38
	s_load_dwordx2 s[0:1], s[4:5], 0x0
	s_load_dwordx2 s[2:3], s[4:5], 0x10
	v_mul_lo_u32 v6, v6, s30
	v_mul_lo_u32 v5, v5, s29
	v_mul_lo_u32 v4, v4, s28
	v_mul_lo_u32 v3, v3, s22
	v_mul_lo_u32 v10, v2, s21
	v_mul_lo_u32 v11, v1, s20
	v_add3_u32 v1, v8, v9, v7
	v_mov_b32_e32 v2, 0
	v_mov_b32_e32 v8, v2
	v_lshlrev_b64 v[1:2], 1, v[1:2]
	v_add3_u32 v4, v5, v6, v4
	v_add3_u32 v7, v10, v11, v3
	s_waitcnt lgkmcnt(0)
	v_mov_b32_e32 v3, s1
	v_add_co_u32_e32 v5, vcc, s0, v1
	v_addc_co_u32_e32 v6, vcc, v3, v2, vcc
	v_lshlrev_b64 v[1:2], 1, v[7:8]
	s_load_dwordx8 s[36:43], s[4:5], 0x90
	v_mov_b32_e32 v3, s3
	v_add_co_u32_e32 v7, vcc, s2, v1
	v_addc_co_u32_e32 v8, vcc, v3, v2, vcc
	s_cmp_lg_u64 s[0:1], 0
	v_mul_lo_u32 v2, s23, v0
	s_cselect_b64 s[0:1], -1, 0
	s_mul_i32 s6, s6, s8
	v_cndmask_b32_e64 v1, 0, 1, s[0:1]
	s_mov_b64 s[4:5], 0
	s_mul_i32 s7, s6, s23
	s_sub_i32 s8, 0, s9
	v_cmp_ne_u32_e64 s[0:1], 1, v1
	s_waitcnt lgkmcnt(0)
	v_mov_b32_e32 v9, s37
	v_mov_b32_e32 v10, s39
	;; [unrolled: 1-line block ×4, first 2 shown]
	s_branch .LBB117_4
.LBB117_3:                              ;   in Loop: Header=BB117_4 Depth=1
	v_mul_hi_u32 v1, s18, v0
	v_add_u32_e32 v2, s7, v2
	v_add_u32_e32 v1, v0, v1
	v_lshrrev_b32_e32 v1, s19, v1
	v_mad_u64_u32 v[13:14], s[2:3], s8, v1, v[0:1]
	v_mul_lo_u32 v1, v13, s27
	v_add_co_u32_e32 v13, vcc, v1, v4
	v_addc_co_u32_e64 v14, s[2:3], 0, 0, vcc
	v_lshlrev_b64 v[13:14], 2, v[13:14]
	v_ashrrev_i32_e32 v1, 31, v0
	v_add_co_u32_e32 v15, vcc, s36, v13
	v_addc_co_u32_e32 v16, vcc, v9, v14, vcc
	global_load_dword v17, v[15:16], off
	v_add_co_u32_e32 v15, vcc, s38, v13
	v_addc_co_u32_e32 v16, vcc, v10, v14, vcc
	global_load_dword v18, v[15:16], off
	v_add_co_u32_e32 v15, vcc, s40, v13
	v_addc_co_u32_e32 v16, vcc, v11, v14, vcc
	v_add_co_u32_e32 v13, vcc, s42, v13
	global_load_dword v15, v[15:16], off
	v_addc_co_u32_e32 v14, vcc, v12, v14, vcc
	global_load_dword v16, v[13:14], off
	v_lshlrev_b64 v[13:14], 1, v[0:1]
	v_add_u32_e32 v0, s6, v0
	v_cmp_le_i32_e32 vcc, s12, v0
	v_add_co_u32_e64 v13, s[2:3], v7, v13
	v_addc_co_u32_e64 v14, s[2:3], v8, v14, s[2:3]
	s_or_b64 s[4:5], vcc, s[4:5]
	s_waitcnt vmcnt(3)
	v_mul_f32_e32 v1, v3, v17
	s_waitcnt vmcnt(2)
	v_mul_f32_e32 v1, v1, v18
	;; [unrolled: 2-line block ×3, first 2 shown]
	s_waitcnt vmcnt(0)
	v_fma_mixlo_f16 v1, v1, v16, 0
	global_store_short v[13:14], v1, off
	s_andn2_b64 exec, exec, s[4:5]
	s_cbranch_execz .LBB117_6
.LBB117_4:                              ; =>This Inner Loop Header: Depth=1
	s_and_b64 vcc, exec, s[0:1]
	v_mov_b32_e32 v3, 0
	s_cbranch_vccnz .LBB117_3
; %bb.5:                                ;   in Loop: Header=BB117_4 Depth=1
	v_ashrrev_i32_e32 v3, 31, v2
	v_lshlrev_b64 v[13:14], 1, v[2:3]
	v_add_co_u32_e32 v13, vcc, v5, v13
	v_addc_co_u32_e32 v14, vcc, v6, v14, vcc
	global_load_ushort v1, v[13:14], off
	s_waitcnt vmcnt(0)
	v_cvt_f32_f16_e32 v3, v1
	s_branch .LBB117_3
.LBB117_6:
	s_endpgm
	.section	.rodata,"a",@progbits
	.p2align	6, 0x0
	.amdhsa_kernel _ZL11k_bin_bcastIXadL_ZL6op_mulffEE6__halffS0_JPKfS2_S2_S2_EEvPKT0_PKT1_PT2_iii15HIP_vector_typeIjLj3EESC_SC_SC_SC_iiiiiiiiiiiDpT3_
		.amdhsa_group_segment_fixed_size 0
		.amdhsa_private_segment_fixed_size 0
		.amdhsa_kernarg_size 432
		.amdhsa_user_sgpr_count 6
		.amdhsa_user_sgpr_private_segment_buffer 1
		.amdhsa_user_sgpr_dispatch_ptr 0
		.amdhsa_user_sgpr_queue_ptr 0
		.amdhsa_user_sgpr_kernarg_segment_ptr 1
		.amdhsa_user_sgpr_dispatch_id 0
		.amdhsa_user_sgpr_flat_scratch_init 0
		.amdhsa_user_sgpr_private_segment_size 0
		.amdhsa_uses_dynamic_stack 0
		.amdhsa_system_sgpr_private_segment_wavefront_offset 0
		.amdhsa_system_sgpr_workgroup_id_x 1
		.amdhsa_system_sgpr_workgroup_id_y 1
		.amdhsa_system_sgpr_workgroup_id_z 1
		.amdhsa_system_sgpr_workgroup_info 0
		.amdhsa_system_vgpr_workitem_id 2
		.amdhsa_next_free_vgpr 19
		.amdhsa_next_free_sgpr 44
		.amdhsa_reserve_vcc 1
		.amdhsa_reserve_flat_scratch 0
		.amdhsa_float_round_mode_32 0
		.amdhsa_float_round_mode_16_64 0
		.amdhsa_float_denorm_mode_32 3
		.amdhsa_float_denorm_mode_16_64 3
		.amdhsa_dx10_clamp 1
		.amdhsa_ieee_mode 1
		.amdhsa_fp16_overflow 0
		.amdhsa_exception_fp_ieee_invalid_op 0
		.amdhsa_exception_fp_denorm_src 0
		.amdhsa_exception_fp_ieee_div_zero 0
		.amdhsa_exception_fp_ieee_overflow 0
		.amdhsa_exception_fp_ieee_underflow 0
		.amdhsa_exception_fp_ieee_inexact 0
		.amdhsa_exception_int_div_zero 0
	.end_amdhsa_kernel
	.section	.text._ZL11k_bin_bcastIXadL_ZL6op_mulffEE6__halffS0_JPKfS2_S2_S2_EEvPKT0_PKT1_PT2_iii15HIP_vector_typeIjLj3EESC_SC_SC_SC_iiiiiiiiiiiDpT3_,"axG",@progbits,_ZL11k_bin_bcastIXadL_ZL6op_mulffEE6__halffS0_JPKfS2_S2_S2_EEvPKT0_PKT1_PT2_iii15HIP_vector_typeIjLj3EESC_SC_SC_SC_iiiiiiiiiiiDpT3_,comdat
.Lfunc_end117:
	.size	_ZL11k_bin_bcastIXadL_ZL6op_mulffEE6__halffS0_JPKfS2_S2_S2_EEvPKT0_PKT1_PT2_iii15HIP_vector_typeIjLj3EESC_SC_SC_SC_iiiiiiiiiiiDpT3_, .Lfunc_end117-_ZL11k_bin_bcastIXadL_ZL6op_mulffEE6__halffS0_JPKfS2_S2_S2_EEvPKT0_PKT1_PT2_iii15HIP_vector_typeIjLj3EESC_SC_SC_SC_iiiiiiiiiiiDpT3_
                                        ; -- End function
	.set _ZL11k_bin_bcastIXadL_ZL6op_mulffEE6__halffS0_JPKfS2_S2_S2_EEvPKT0_PKT1_PT2_iii15HIP_vector_typeIjLj3EESC_SC_SC_SC_iiiiiiiiiiiDpT3_.num_vgpr, 19
	.set _ZL11k_bin_bcastIXadL_ZL6op_mulffEE6__halffS0_JPKfS2_S2_S2_EEvPKT0_PKT1_PT2_iii15HIP_vector_typeIjLj3EESC_SC_SC_SC_iiiiiiiiiiiDpT3_.num_agpr, 0
	.set _ZL11k_bin_bcastIXadL_ZL6op_mulffEE6__halffS0_JPKfS2_S2_S2_EEvPKT0_PKT1_PT2_iii15HIP_vector_typeIjLj3EESC_SC_SC_SC_iiiiiiiiiiiDpT3_.numbered_sgpr, 44
	.set _ZL11k_bin_bcastIXadL_ZL6op_mulffEE6__halffS0_JPKfS2_S2_S2_EEvPKT0_PKT1_PT2_iii15HIP_vector_typeIjLj3EESC_SC_SC_SC_iiiiiiiiiiiDpT3_.num_named_barrier, 0
	.set _ZL11k_bin_bcastIXadL_ZL6op_mulffEE6__halffS0_JPKfS2_S2_S2_EEvPKT0_PKT1_PT2_iii15HIP_vector_typeIjLj3EESC_SC_SC_SC_iiiiiiiiiiiDpT3_.private_seg_size, 0
	.set _ZL11k_bin_bcastIXadL_ZL6op_mulffEE6__halffS0_JPKfS2_S2_S2_EEvPKT0_PKT1_PT2_iii15HIP_vector_typeIjLj3EESC_SC_SC_SC_iiiiiiiiiiiDpT3_.uses_vcc, 1
	.set _ZL11k_bin_bcastIXadL_ZL6op_mulffEE6__halffS0_JPKfS2_S2_S2_EEvPKT0_PKT1_PT2_iii15HIP_vector_typeIjLj3EESC_SC_SC_SC_iiiiiiiiiiiDpT3_.uses_flat_scratch, 0
	.set _ZL11k_bin_bcastIXadL_ZL6op_mulffEE6__halffS0_JPKfS2_S2_S2_EEvPKT0_PKT1_PT2_iii15HIP_vector_typeIjLj3EESC_SC_SC_SC_iiiiiiiiiiiDpT3_.has_dyn_sized_stack, 0
	.set _ZL11k_bin_bcastIXadL_ZL6op_mulffEE6__halffS0_JPKfS2_S2_S2_EEvPKT0_PKT1_PT2_iii15HIP_vector_typeIjLj3EESC_SC_SC_SC_iiiiiiiiiiiDpT3_.has_recursion, 0
	.set _ZL11k_bin_bcastIXadL_ZL6op_mulffEE6__halffS0_JPKfS2_S2_S2_EEvPKT0_PKT1_PT2_iii15HIP_vector_typeIjLj3EESC_SC_SC_SC_iiiiiiiiiiiDpT3_.has_indirect_call, 0
	.section	.AMDGPU.csdata,"",@progbits
; Kernel info:
; codeLenInByte = 804
; TotalNumSgprs: 48
; NumVgprs: 19
; ScratchSize: 0
; MemoryBound: 0
; FloatMode: 240
; IeeeMode: 1
; LDSByteSize: 0 bytes/workgroup (compile time only)
; SGPRBlocks: 5
; VGPRBlocks: 4
; NumSGPRsForWavesPerEU: 48
; NumVGPRsForWavesPerEU: 19
; Occupancy: 10
; WaveLimiterHint : 1
; COMPUTE_PGM_RSRC2:SCRATCH_EN: 0
; COMPUTE_PGM_RSRC2:USER_SGPR: 6
; COMPUTE_PGM_RSRC2:TRAP_HANDLER: 0
; COMPUTE_PGM_RSRC2:TGID_X_EN: 1
; COMPUTE_PGM_RSRC2:TGID_Y_EN: 1
; COMPUTE_PGM_RSRC2:TGID_Z_EN: 1
; COMPUTE_PGM_RSRC2:TIDIG_COMP_CNT: 2
	.section	.text._ZL19k_bin_bcast_unravelIXadL_ZL6op_mulffEE6__halfffJPKfS2_S2_S2_EEvPKT0_PKT1_PT2_15HIP_vector_typeIjLj3EESC_SC_jSC_SC_SC_SC_SC_SC_iiiiiiiiiiiDpT3_,"axG",@progbits,_ZL19k_bin_bcast_unravelIXadL_ZL6op_mulffEE6__halfffJPKfS2_S2_S2_EEvPKT0_PKT1_PT2_15HIP_vector_typeIjLj3EESC_SC_jSC_SC_SC_SC_SC_SC_iiiiiiiiiiiDpT3_,comdat
	.globl	_ZL19k_bin_bcast_unravelIXadL_ZL6op_mulffEE6__halfffJPKfS2_S2_S2_EEvPKT0_PKT1_PT2_15HIP_vector_typeIjLj3EESC_SC_jSC_SC_SC_SC_SC_SC_iiiiiiiiiiiDpT3_ ; -- Begin function _ZL19k_bin_bcast_unravelIXadL_ZL6op_mulffEE6__halfffJPKfS2_S2_S2_EEvPKT0_PKT1_PT2_15HIP_vector_typeIjLj3EESC_SC_jSC_SC_SC_SC_SC_SC_iiiiiiiiiiiDpT3_
	.p2align	8
	.type	_ZL19k_bin_bcast_unravelIXadL_ZL6op_mulffEE6__halfffJPKfS2_S2_S2_EEvPKT0_PKT1_PT2_15HIP_vector_typeIjLj3EESC_SC_jSC_SC_SC_SC_SC_SC_iiiiiiiiiiiDpT3_,@function
_ZL19k_bin_bcast_unravelIXadL_ZL6op_mulffEE6__halfffJPKfS2_S2_S2_EEvPKT0_PKT1_PT2_15HIP_vector_typeIjLj3EESC_SC_jSC_SC_SC_SC_SC_SC_iiiiiiiiiiiDpT3_: ; @_ZL19k_bin_bcast_unravelIXadL_ZL6op_mulffEE6__halfffJPKfS2_S2_S2_EEvPKT0_PKT1_PT2_15HIP_vector_typeIjLj3EESC_SC_jSC_SC_SC_SC_SC_SC_iiiiiiiiiiiDpT3_
; %bb.0:
	s_load_dword s0, s[4:5], 0xe4
	s_load_dwordx8 s[8:15], s[4:5], 0x38
	s_waitcnt lgkmcnt(0)
	s_and_b32 s0, s0, 0xffff
	s_mul_i32 s6, s6, s0
	v_add_u32_e32 v0, s6, v0
	v_mul_hi_u32 v1, v0, s10
	s_load_dwordx4 s[0:3], s[4:5], 0x18
	s_waitcnt lgkmcnt(0)
	s_load_dword s3, s[4:5], 0x2c
	v_add_u32_e32 v1, v0, v1
	v_lshrrev_b32_e32 v1, s11, v1
	v_mul_lo_u32 v2, v1, s12
	v_sub_u32_e32 v0, v0, v2
	v_mul_hi_u32 v2, v0, s13
	v_add_u32_e32 v2, v0, v2
	v_lshrrev_b32_e32 v3, s14, v2
	v_mul_lo_u32 v2, v3, s15
	v_cmp_gt_u32_e32 vcc, s8, v3
	v_sub_u32_e32 v0, v0, v2
	v_mul_hi_u32 v2, v0, s0
	v_add_u32_e32 v2, v0, v2
	v_lshrrev_b32_e32 v4, s1, v2
	v_mul_lo_u32 v2, v4, s2
	s_waitcnt lgkmcnt(0)
	v_cmp_gt_u32_e64 s[0:1], s3, v4
	v_sub_u32_e32 v0, v0, v2
	v_cmp_gt_u32_e64 s[2:3], s2, v0
	s_and_b64 s[0:1], s[2:3], s[0:1]
	s_and_b64 s[0:1], s[0:1], vcc
	v_cmp_gt_u32_e32 vcc, s9, v1
	s_and_b64 s[0:1], vcc, s[0:1]
	s_and_saveexec_b64 s[2:3], s[0:1]
	s_cbranch_execz .LBB118_4
; %bb.1:
	s_load_dwordx2 s[6:7], s[4:5], 0x0
	s_load_dwordx4 s[0:3], s[4:5], 0xa8
	s_load_dwordx8 s[8:15], s[4:5], 0x88
	s_load_dwordx4 s[24:27], s[4:5], 0x78
	s_load_dwordx8 s[16:23], s[4:5], 0x58
	v_mov_b32_e32 v2, 0
	s_waitcnt lgkmcnt(0)
	s_cmp_eq_u64 s[6:7], 0
	v_mov_b32_e32 v5, 0
	s_cbranch_scc1 .LBB118_3
; %bb.2:
	v_mul_lo_u32 v5, v1, s14
	v_mul_lo_u32 v7, v3, s13
	;; [unrolled: 1-line block ×3, first 2 shown]
	v_mov_b32_e32 v6, 0
	v_mov_b32_e32 v9, s7
	v_add3_u32 v5, v7, v5, v8
	v_lshlrev_b64 v[7:8], 1, v[5:6]
	v_mul_lo_u32 v5, v0, s11
	v_add_co_u32_e32 v7, vcc, s6, v7
	v_addc_co_u32_e32 v8, vcc, v9, v8, vcc
	v_lshlrev_b64 v[5:6], 1, v[5:6]
	v_add_co_u32_e32 v5, vcc, v7, v5
	v_addc_co_u32_e32 v6, vcc, v8, v6, vcc
	global_load_ushort v5, v[5:6], off
	s_waitcnt vmcnt(0)
	v_cvt_f32_f16_e32 v5, v5
.LBB118_3:
	v_mul_hi_u32 v6, s19, v4
	v_mul_hi_u32 v7, s22, v3
	;; [unrolled: 1-line block ×4, first 2 shown]
	v_add_u32_e32 v6, v4, v6
	v_add_u32_e32 v7, v3, v7
	;; [unrolled: 1-line block ×3, first 2 shown]
	v_lshrrev_b32_e32 v6, s20, v6
	v_lshrrev_b32_e32 v7, s23, v7
	;; [unrolled: 1-line block ×3, first 2 shown]
	v_add_u32_e32 v9, v0, v9
	v_mul_lo_u32 v6, v6, s21
	v_mul_lo_u32 v7, v7, s24
	;; [unrolled: 1-line block ×3, first 2 shown]
	v_lshrrev_b32_e32 v9, s17, v9
	v_mul_lo_u32 v9, v9, s18
	v_sub_u32_e32 v6, v4, v6
	v_sub_u32_e32 v7, v3, v7
	;; [unrolled: 1-line block ×3, first 2 shown]
	v_mul_lo_u32 v8, v8, s2
	v_mul_lo_u32 v7, v7, s1
	;; [unrolled: 1-line block ×3, first 2 shown]
	v_sub_u32_e32 v9, v0, v9
	v_mul_lo_u32 v9, v9, s15
	s_load_dwordx8 s[12:19], s[4:5], 0xb8
	v_add3_u32 v6, v7, v8, v6
	v_ashrrev_i32_e32 v7, 31, v6
	v_ashrrev_i32_e32 v8, 31, v9
	v_add_co_u32_e32 v6, vcc, v9, v6
	v_addc_co_u32_e32 v7, vcc, v8, v7, vcc
	v_lshlrev_b64 v[6:7], 2, v[6:7]
	s_waitcnt lgkmcnt(0)
	v_mov_b32_e32 v9, s13
	v_add_co_u32_e32 v8, vcc, s12, v6
	v_addc_co_u32_e32 v9, vcc, v9, v7, vcc
	global_load_dword v10, v[8:9], off
	v_mov_b32_e32 v9, s15
	v_add_co_u32_e32 v8, vcc, s14, v6
	v_addc_co_u32_e32 v9, vcc, v9, v7, vcc
	global_load_dword v11, v[8:9], off
	;; [unrolled: 4-line block ×4, first 2 shown]
	v_mul_lo_u32 v7, v1, s10
	v_mul_lo_u32 v9, v3, s9
	;; [unrolled: 1-line block ×3, first 2 shown]
	s_load_dwordx2 s[0:1], s[4:5], 0x10
	v_mov_b32_e32 v1, v2
	v_lshlrev_b64 v[3:4], 2, v[0:1]
	v_add3_u32 v1, v9, v7, v12
	v_lshlrev_b64 v[0:1], 2, v[1:2]
	s_waitcnt lgkmcnt(0)
	v_mov_b32_e32 v2, s1
	v_add_co_u32_e32 v0, vcc, s0, v0
	v_addc_co_u32_e32 v1, vcc, v2, v1, vcc
	v_add_co_u32_e32 v0, vcc, v0, v3
	v_addc_co_u32_e32 v1, vcc, v1, v4, vcc
	s_waitcnt vmcnt(3)
	v_mul_f32_e32 v2, v5, v10
	s_waitcnt vmcnt(2)
	v_mul_f32_e32 v2, v2, v11
	;; [unrolled: 2-line block ×4, first 2 shown]
	global_store_dword v[0:1], v2, off
.LBB118_4:
	s_endpgm
	.section	.rodata,"a",@progbits
	.p2align	6, 0x0
	.amdhsa_kernel _ZL19k_bin_bcast_unravelIXadL_ZL6op_mulffEE6__halfffJPKfS2_S2_S2_EEvPKT0_PKT1_PT2_15HIP_vector_typeIjLj3EESC_SC_jSC_SC_SC_SC_SC_SC_iiiiiiiiiiiDpT3_
		.amdhsa_group_segment_fixed_size 0
		.amdhsa_private_segment_fixed_size 0
		.amdhsa_kernarg_size 472
		.amdhsa_user_sgpr_count 6
		.amdhsa_user_sgpr_private_segment_buffer 1
		.amdhsa_user_sgpr_dispatch_ptr 0
		.amdhsa_user_sgpr_queue_ptr 0
		.amdhsa_user_sgpr_kernarg_segment_ptr 1
		.amdhsa_user_sgpr_dispatch_id 0
		.amdhsa_user_sgpr_flat_scratch_init 0
		.amdhsa_user_sgpr_private_segment_size 0
		.amdhsa_uses_dynamic_stack 0
		.amdhsa_system_sgpr_private_segment_wavefront_offset 0
		.amdhsa_system_sgpr_workgroup_id_x 1
		.amdhsa_system_sgpr_workgroup_id_y 0
		.amdhsa_system_sgpr_workgroup_id_z 0
		.amdhsa_system_sgpr_workgroup_info 0
		.amdhsa_system_vgpr_workitem_id 0
		.amdhsa_next_free_vgpr 13
		.amdhsa_next_free_sgpr 28
		.amdhsa_reserve_vcc 1
		.amdhsa_reserve_flat_scratch 0
		.amdhsa_float_round_mode_32 0
		.amdhsa_float_round_mode_16_64 0
		.amdhsa_float_denorm_mode_32 3
		.amdhsa_float_denorm_mode_16_64 3
		.amdhsa_dx10_clamp 1
		.amdhsa_ieee_mode 1
		.amdhsa_fp16_overflow 0
		.amdhsa_exception_fp_ieee_invalid_op 0
		.amdhsa_exception_fp_denorm_src 0
		.amdhsa_exception_fp_ieee_div_zero 0
		.amdhsa_exception_fp_ieee_overflow 0
		.amdhsa_exception_fp_ieee_underflow 0
		.amdhsa_exception_fp_ieee_inexact 0
		.amdhsa_exception_int_div_zero 0
	.end_amdhsa_kernel
	.section	.text._ZL19k_bin_bcast_unravelIXadL_ZL6op_mulffEE6__halfffJPKfS2_S2_S2_EEvPKT0_PKT1_PT2_15HIP_vector_typeIjLj3EESC_SC_jSC_SC_SC_SC_SC_SC_iiiiiiiiiiiDpT3_,"axG",@progbits,_ZL19k_bin_bcast_unravelIXadL_ZL6op_mulffEE6__halfffJPKfS2_S2_S2_EEvPKT0_PKT1_PT2_15HIP_vector_typeIjLj3EESC_SC_jSC_SC_SC_SC_SC_SC_iiiiiiiiiiiDpT3_,comdat
.Lfunc_end118:
	.size	_ZL19k_bin_bcast_unravelIXadL_ZL6op_mulffEE6__halfffJPKfS2_S2_S2_EEvPKT0_PKT1_PT2_15HIP_vector_typeIjLj3EESC_SC_jSC_SC_SC_SC_SC_SC_iiiiiiiiiiiDpT3_, .Lfunc_end118-_ZL19k_bin_bcast_unravelIXadL_ZL6op_mulffEE6__halfffJPKfS2_S2_S2_EEvPKT0_PKT1_PT2_15HIP_vector_typeIjLj3EESC_SC_jSC_SC_SC_SC_SC_SC_iiiiiiiiiiiDpT3_
                                        ; -- End function
	.set _ZL19k_bin_bcast_unravelIXadL_ZL6op_mulffEE6__halfffJPKfS2_S2_S2_EEvPKT0_PKT1_PT2_15HIP_vector_typeIjLj3EESC_SC_jSC_SC_SC_SC_SC_SC_iiiiiiiiiiiDpT3_.num_vgpr, 13
	.set _ZL19k_bin_bcast_unravelIXadL_ZL6op_mulffEE6__halfffJPKfS2_S2_S2_EEvPKT0_PKT1_PT2_15HIP_vector_typeIjLj3EESC_SC_jSC_SC_SC_SC_SC_SC_iiiiiiiiiiiDpT3_.num_agpr, 0
	.set _ZL19k_bin_bcast_unravelIXadL_ZL6op_mulffEE6__halfffJPKfS2_S2_S2_EEvPKT0_PKT1_PT2_15HIP_vector_typeIjLj3EESC_SC_jSC_SC_SC_SC_SC_SC_iiiiiiiiiiiDpT3_.numbered_sgpr, 28
	.set _ZL19k_bin_bcast_unravelIXadL_ZL6op_mulffEE6__halfffJPKfS2_S2_S2_EEvPKT0_PKT1_PT2_15HIP_vector_typeIjLj3EESC_SC_jSC_SC_SC_SC_SC_SC_iiiiiiiiiiiDpT3_.num_named_barrier, 0
	.set _ZL19k_bin_bcast_unravelIXadL_ZL6op_mulffEE6__halfffJPKfS2_S2_S2_EEvPKT0_PKT1_PT2_15HIP_vector_typeIjLj3EESC_SC_jSC_SC_SC_SC_SC_SC_iiiiiiiiiiiDpT3_.private_seg_size, 0
	.set _ZL19k_bin_bcast_unravelIXadL_ZL6op_mulffEE6__halfffJPKfS2_S2_S2_EEvPKT0_PKT1_PT2_15HIP_vector_typeIjLj3EESC_SC_jSC_SC_SC_SC_SC_SC_iiiiiiiiiiiDpT3_.uses_vcc, 1
	.set _ZL19k_bin_bcast_unravelIXadL_ZL6op_mulffEE6__halfffJPKfS2_S2_S2_EEvPKT0_PKT1_PT2_15HIP_vector_typeIjLj3EESC_SC_jSC_SC_SC_SC_SC_SC_iiiiiiiiiiiDpT3_.uses_flat_scratch, 0
	.set _ZL19k_bin_bcast_unravelIXadL_ZL6op_mulffEE6__halfffJPKfS2_S2_S2_EEvPKT0_PKT1_PT2_15HIP_vector_typeIjLj3EESC_SC_jSC_SC_SC_SC_SC_SC_iiiiiiiiiiiDpT3_.has_dyn_sized_stack, 0
	.set _ZL19k_bin_bcast_unravelIXadL_ZL6op_mulffEE6__halfffJPKfS2_S2_S2_EEvPKT0_PKT1_PT2_15HIP_vector_typeIjLj3EESC_SC_jSC_SC_SC_SC_SC_SC_iiiiiiiiiiiDpT3_.has_recursion, 0
	.set _ZL19k_bin_bcast_unravelIXadL_ZL6op_mulffEE6__halfffJPKfS2_S2_S2_EEvPKT0_PKT1_PT2_15HIP_vector_typeIjLj3EESC_SC_jSC_SC_SC_SC_SC_SC_iiiiiiiiiiiDpT3_.has_indirect_call, 0
	.section	.AMDGPU.csdata,"",@progbits
; Kernel info:
; codeLenInByte = 740
; TotalNumSgprs: 32
; NumVgprs: 13
; ScratchSize: 0
; MemoryBound: 0
; FloatMode: 240
; IeeeMode: 1
; LDSByteSize: 0 bytes/workgroup (compile time only)
; SGPRBlocks: 3
; VGPRBlocks: 3
; NumSGPRsForWavesPerEU: 32
; NumVGPRsForWavesPerEU: 13
; Occupancy: 10
; WaveLimiterHint : 1
; COMPUTE_PGM_RSRC2:SCRATCH_EN: 0
; COMPUTE_PGM_RSRC2:USER_SGPR: 6
; COMPUTE_PGM_RSRC2:TRAP_HANDLER: 0
; COMPUTE_PGM_RSRC2:TGID_X_EN: 1
; COMPUTE_PGM_RSRC2:TGID_Y_EN: 0
; COMPUTE_PGM_RSRC2:TGID_Z_EN: 0
; COMPUTE_PGM_RSRC2:TIDIG_COMP_CNT: 0
	.section	.text._ZL11k_bin_bcastIXadL_ZL6op_mulffEE6__halfffJPKfS2_S2_S2_EEvPKT0_PKT1_PT2_iii15HIP_vector_typeIjLj3EESC_SC_SC_SC_iiiiiiiiiiiDpT3_,"axG",@progbits,_ZL11k_bin_bcastIXadL_ZL6op_mulffEE6__halfffJPKfS2_S2_S2_EEvPKT0_PKT1_PT2_iii15HIP_vector_typeIjLj3EESC_SC_SC_SC_iiiiiiiiiiiDpT3_,comdat
	.globl	_ZL11k_bin_bcastIXadL_ZL6op_mulffEE6__halfffJPKfS2_S2_S2_EEvPKT0_PKT1_PT2_iii15HIP_vector_typeIjLj3EESC_SC_SC_SC_iiiiiiiiiiiDpT3_ ; -- Begin function _ZL11k_bin_bcastIXadL_ZL6op_mulffEE6__halfffJPKfS2_S2_S2_EEvPKT0_PKT1_PT2_iii15HIP_vector_typeIjLj3EESC_SC_SC_SC_iiiiiiiiiiiDpT3_
	.p2align	8
	.type	_ZL11k_bin_bcastIXadL_ZL6op_mulffEE6__halfffJPKfS2_S2_S2_EEvPKT0_PKT1_PT2_iii15HIP_vector_typeIjLj3EESC_SC_SC_SC_iiiiiiiiiiiDpT3_,@function
_ZL11k_bin_bcastIXadL_ZL6op_mulffEE6__halfffJPKfS2_S2_S2_EEvPKT0_PKT1_PT2_iii15HIP_vector_typeIjLj3EESC_SC_SC_SC_iiiiiiiiiiiDpT3_: ; @_ZL11k_bin_bcastIXadL_ZL6op_mulffEE6__halfffJPKfS2_S2_S2_EEvPKT0_PKT1_PT2_iii15HIP_vector_typeIjLj3EESC_SC_SC_SC_iiiiiiiiiiiDpT3_
; %bb.0:
	s_load_dwordx2 s[0:1], s[4:5], 0xbc
	s_load_dwordx8 s[12:19], s[4:5], 0x18
	s_add_u32 s2, s4, 0xb0
	s_addc_u32 s3, s5, 0
	s_waitcnt lgkmcnt(0)
	s_and_b32 s1, s1, 0xffff
	s_mul_i32 s8, s8, s1
	v_add_u32_e32 v3, s8, v2
	v_mul_hi_u32 v2, v3, s15
	s_lshr_b32 s1, s0, 16
	s_and_b32 s8, s0, 0xffff
	s_mul_i32 s6, s6, s8
	v_add_u32_e32 v2, v3, v2
	v_lshrrev_b32_e32 v2, s16, v2
	v_mul_lo_u32 v4, v2, s17
	s_mul_i32 s7, s7, s1
	v_add_u32_e32 v0, s6, v0
	v_add_u32_e32 v1, s7, v1
	v_cmp_gt_u32_e32 vcc, s12, v0
	v_cmp_gt_u32_e64 s[0:1], s13, v1
	v_sub_u32_e32 v3, v3, v4
	s_and_b64 s[0:1], vcc, s[0:1]
	v_cmp_gt_u32_e32 vcc, s14, v2
	s_and_b64 s[0:1], s[0:1], vcc
	v_cmp_gt_u32_e32 vcc, s17, v3
	s_and_b64 s[0:1], s[0:1], vcc
	s_and_saveexec_b64 s[6:7], s[0:1]
	s_cbranch_execz .LBB119_6
; %bb.1:
	v_cmp_gt_i32_e32 vcc, s12, v0
	s_and_b64 exec, exec, vcc
	s_cbranch_execz .LBB119_6
; %bb.2:
	s_load_dwordx8 s[36:43], s[4:5], 0x3c
	s_load_dwordx8 s[20:27], s[4:5], 0x60
	s_load_dwordx4 s[28:31], s[4:5], 0x80
	s_load_dword s6, s[2:3], 0x0
	s_load_dword s0, s[4:5], 0x5c
	s_waitcnt lgkmcnt(0)
	v_mul_hi_u32 v4, s36, v1
	v_mul_hi_u32 v5, s39, v2
	;; [unrolled: 1-line block ×3, first 2 shown]
	v_mul_lo_u32 v7, v3, s26
	v_add_u32_e32 v4, v1, v4
	v_add_u32_e32 v5, v2, v5
	;; [unrolled: 1-line block ×3, first 2 shown]
	v_lshrrev_b32_e32 v4, s37, v4
	v_lshrrev_b32_e32 v5, s40, v5
	;; [unrolled: 1-line block ×3, first 2 shown]
	v_mul_lo_u32 v4, v4, s38
	v_mul_lo_u32 v5, v5, s41
	;; [unrolled: 1-line block ×5, first 2 shown]
	v_sub_u32_e32 v4, v1, v4
	v_sub_u32_e32 v5, v2, v5
	v_sub_u32_e32 v6, v3, v6
	s_load_dword s9, s[4:5], 0x38
	s_load_dwordx2 s[0:1], s[4:5], 0x0
	s_load_dwordx2 s[2:3], s[4:5], 0x10
	v_mul_lo_u32 v6, v6, s30
	v_mul_lo_u32 v5, v5, s29
	;; [unrolled: 1-line block ×6, first 2 shown]
	v_add3_u32 v1, v8, v9, v7
	v_mov_b32_e32 v2, 0
	v_mov_b32_e32 v8, v2
	v_lshlrev_b64 v[1:2], 1, v[1:2]
	v_add3_u32 v4, v5, v6, v4
	v_add3_u32 v7, v10, v11, v3
	s_waitcnt lgkmcnt(0)
	v_mov_b32_e32 v3, s1
	v_add_co_u32_e32 v5, vcc, s0, v1
	v_addc_co_u32_e32 v6, vcc, v3, v2, vcc
	v_lshlrev_b64 v[1:2], 2, v[7:8]
	s_load_dwordx8 s[36:43], s[4:5], 0x90
	v_mov_b32_e32 v3, s3
	v_add_co_u32_e32 v7, vcc, s2, v1
	v_addc_co_u32_e32 v8, vcc, v3, v2, vcc
	s_cmp_lg_u64 s[0:1], 0
	v_mul_lo_u32 v2, s23, v0
	s_cselect_b64 s[0:1], -1, 0
	s_mul_i32 s6, s6, s8
	v_cndmask_b32_e64 v1, 0, 1, s[0:1]
	s_mov_b64 s[4:5], 0
	s_mul_i32 s7, s6, s23
	s_sub_i32 s8, 0, s9
	v_cmp_ne_u32_e64 s[0:1], 1, v1
	s_waitcnt lgkmcnt(0)
	v_mov_b32_e32 v9, s37
	v_mov_b32_e32 v10, s39
	v_mov_b32_e32 v11, s41
	v_mov_b32_e32 v12, s43
	s_branch .LBB119_4
.LBB119_3:                              ;   in Loop: Header=BB119_4 Depth=1
	v_mul_hi_u32 v1, s18, v0
	v_add_u32_e32 v2, s7, v2
	v_add_u32_e32 v1, v0, v1
	v_lshrrev_b32_e32 v1, s19, v1
	v_mad_u64_u32 v[13:14], s[2:3], s8, v1, v[0:1]
	v_mul_lo_u32 v1, v13, s27
	v_add_co_u32_e32 v13, vcc, v1, v4
	v_addc_co_u32_e64 v14, s[2:3], 0, 0, vcc
	v_lshlrev_b64 v[13:14], 2, v[13:14]
	v_ashrrev_i32_e32 v1, 31, v0
	v_add_co_u32_e32 v15, vcc, s36, v13
	v_addc_co_u32_e32 v16, vcc, v9, v14, vcc
	global_load_dword v17, v[15:16], off
	v_add_co_u32_e32 v15, vcc, s38, v13
	v_addc_co_u32_e32 v16, vcc, v10, v14, vcc
	global_load_dword v18, v[15:16], off
	v_add_co_u32_e32 v15, vcc, s40, v13
	v_addc_co_u32_e32 v16, vcc, v11, v14, vcc
	v_add_co_u32_e32 v13, vcc, s42, v13
	global_load_dword v15, v[15:16], off
	v_addc_co_u32_e32 v14, vcc, v12, v14, vcc
	global_load_dword v16, v[13:14], off
	v_lshlrev_b64 v[13:14], 2, v[0:1]
	v_add_u32_e32 v0, s6, v0
	v_cmp_le_i32_e32 vcc, s12, v0
	v_add_co_u32_e64 v13, s[2:3], v7, v13
	v_addc_co_u32_e64 v14, s[2:3], v8, v14, s[2:3]
	s_or_b64 s[4:5], vcc, s[4:5]
	s_waitcnt vmcnt(3)
	v_mul_f32_e32 v1, v3, v17
	s_waitcnt vmcnt(2)
	v_mul_f32_e32 v1, v1, v18
	;; [unrolled: 2-line block ×4, first 2 shown]
	global_store_dword v[13:14], v1, off
	s_andn2_b64 exec, exec, s[4:5]
	s_cbranch_execz .LBB119_6
.LBB119_4:                              ; =>This Inner Loop Header: Depth=1
	s_and_b64 vcc, exec, s[0:1]
	v_mov_b32_e32 v3, 0
	s_cbranch_vccnz .LBB119_3
; %bb.5:                                ;   in Loop: Header=BB119_4 Depth=1
	v_ashrrev_i32_e32 v3, 31, v2
	v_lshlrev_b64 v[13:14], 1, v[2:3]
	v_add_co_u32_e32 v13, vcc, v5, v13
	v_addc_co_u32_e32 v14, vcc, v6, v14, vcc
	global_load_ushort v1, v[13:14], off
	s_waitcnt vmcnt(0)
	v_cvt_f32_f16_e32 v3, v1
	s_branch .LBB119_3
.LBB119_6:
	s_endpgm
	.section	.rodata,"a",@progbits
	.p2align	6, 0x0
	.amdhsa_kernel _ZL11k_bin_bcastIXadL_ZL6op_mulffEE6__halfffJPKfS2_S2_S2_EEvPKT0_PKT1_PT2_iii15HIP_vector_typeIjLj3EESC_SC_SC_SC_iiiiiiiiiiiDpT3_
		.amdhsa_group_segment_fixed_size 0
		.amdhsa_private_segment_fixed_size 0
		.amdhsa_kernarg_size 432
		.amdhsa_user_sgpr_count 6
		.amdhsa_user_sgpr_private_segment_buffer 1
		.amdhsa_user_sgpr_dispatch_ptr 0
		.amdhsa_user_sgpr_queue_ptr 0
		.amdhsa_user_sgpr_kernarg_segment_ptr 1
		.amdhsa_user_sgpr_dispatch_id 0
		.amdhsa_user_sgpr_flat_scratch_init 0
		.amdhsa_user_sgpr_private_segment_size 0
		.amdhsa_uses_dynamic_stack 0
		.amdhsa_system_sgpr_private_segment_wavefront_offset 0
		.amdhsa_system_sgpr_workgroup_id_x 1
		.amdhsa_system_sgpr_workgroup_id_y 1
		.amdhsa_system_sgpr_workgroup_id_z 1
		.amdhsa_system_sgpr_workgroup_info 0
		.amdhsa_system_vgpr_workitem_id 2
		.amdhsa_next_free_vgpr 19
		.amdhsa_next_free_sgpr 44
		.amdhsa_reserve_vcc 1
		.amdhsa_reserve_flat_scratch 0
		.amdhsa_float_round_mode_32 0
		.amdhsa_float_round_mode_16_64 0
		.amdhsa_float_denorm_mode_32 3
		.amdhsa_float_denorm_mode_16_64 3
		.amdhsa_dx10_clamp 1
		.amdhsa_ieee_mode 1
		.amdhsa_fp16_overflow 0
		.amdhsa_exception_fp_ieee_invalid_op 0
		.amdhsa_exception_fp_denorm_src 0
		.amdhsa_exception_fp_ieee_div_zero 0
		.amdhsa_exception_fp_ieee_overflow 0
		.amdhsa_exception_fp_ieee_underflow 0
		.amdhsa_exception_fp_ieee_inexact 0
		.amdhsa_exception_int_div_zero 0
	.end_amdhsa_kernel
	.section	.text._ZL11k_bin_bcastIXadL_ZL6op_mulffEE6__halfffJPKfS2_S2_S2_EEvPKT0_PKT1_PT2_iii15HIP_vector_typeIjLj3EESC_SC_SC_SC_iiiiiiiiiiiDpT3_,"axG",@progbits,_ZL11k_bin_bcastIXadL_ZL6op_mulffEE6__halfffJPKfS2_S2_S2_EEvPKT0_PKT1_PT2_iii15HIP_vector_typeIjLj3EESC_SC_SC_SC_iiiiiiiiiiiDpT3_,comdat
.Lfunc_end119:
	.size	_ZL11k_bin_bcastIXadL_ZL6op_mulffEE6__halfffJPKfS2_S2_S2_EEvPKT0_PKT1_PT2_iii15HIP_vector_typeIjLj3EESC_SC_SC_SC_iiiiiiiiiiiDpT3_, .Lfunc_end119-_ZL11k_bin_bcastIXadL_ZL6op_mulffEE6__halfffJPKfS2_S2_S2_EEvPKT0_PKT1_PT2_iii15HIP_vector_typeIjLj3EESC_SC_SC_SC_iiiiiiiiiiiDpT3_
                                        ; -- End function
	.set _ZL11k_bin_bcastIXadL_ZL6op_mulffEE6__halfffJPKfS2_S2_S2_EEvPKT0_PKT1_PT2_iii15HIP_vector_typeIjLj3EESC_SC_SC_SC_iiiiiiiiiiiDpT3_.num_vgpr, 19
	.set _ZL11k_bin_bcastIXadL_ZL6op_mulffEE6__halfffJPKfS2_S2_S2_EEvPKT0_PKT1_PT2_iii15HIP_vector_typeIjLj3EESC_SC_SC_SC_iiiiiiiiiiiDpT3_.num_agpr, 0
	.set _ZL11k_bin_bcastIXadL_ZL6op_mulffEE6__halfffJPKfS2_S2_S2_EEvPKT0_PKT1_PT2_iii15HIP_vector_typeIjLj3EESC_SC_SC_SC_iiiiiiiiiiiDpT3_.numbered_sgpr, 44
	.set _ZL11k_bin_bcastIXadL_ZL6op_mulffEE6__halfffJPKfS2_S2_S2_EEvPKT0_PKT1_PT2_iii15HIP_vector_typeIjLj3EESC_SC_SC_SC_iiiiiiiiiiiDpT3_.num_named_barrier, 0
	.set _ZL11k_bin_bcastIXadL_ZL6op_mulffEE6__halfffJPKfS2_S2_S2_EEvPKT0_PKT1_PT2_iii15HIP_vector_typeIjLj3EESC_SC_SC_SC_iiiiiiiiiiiDpT3_.private_seg_size, 0
	.set _ZL11k_bin_bcastIXadL_ZL6op_mulffEE6__halfffJPKfS2_S2_S2_EEvPKT0_PKT1_PT2_iii15HIP_vector_typeIjLj3EESC_SC_SC_SC_iiiiiiiiiiiDpT3_.uses_vcc, 1
	.set _ZL11k_bin_bcastIXadL_ZL6op_mulffEE6__halfffJPKfS2_S2_S2_EEvPKT0_PKT1_PT2_iii15HIP_vector_typeIjLj3EESC_SC_SC_SC_iiiiiiiiiiiDpT3_.uses_flat_scratch, 0
	.set _ZL11k_bin_bcastIXadL_ZL6op_mulffEE6__halfffJPKfS2_S2_S2_EEvPKT0_PKT1_PT2_iii15HIP_vector_typeIjLj3EESC_SC_SC_SC_iiiiiiiiiiiDpT3_.has_dyn_sized_stack, 0
	.set _ZL11k_bin_bcastIXadL_ZL6op_mulffEE6__halfffJPKfS2_S2_S2_EEvPKT0_PKT1_PT2_iii15HIP_vector_typeIjLj3EESC_SC_SC_SC_iiiiiiiiiiiDpT3_.has_recursion, 0
	.set _ZL11k_bin_bcastIXadL_ZL6op_mulffEE6__halfffJPKfS2_S2_S2_EEvPKT0_PKT1_PT2_iii15HIP_vector_typeIjLj3EESC_SC_SC_SC_iiiiiiiiiiiDpT3_.has_indirect_call, 0
	.section	.AMDGPU.csdata,"",@progbits
; Kernel info:
; codeLenInByte = 800
; TotalNumSgprs: 48
; NumVgprs: 19
; ScratchSize: 0
; MemoryBound: 0
; FloatMode: 240
; IeeeMode: 1
; LDSByteSize: 0 bytes/workgroup (compile time only)
; SGPRBlocks: 5
; VGPRBlocks: 4
; NumSGPRsForWavesPerEU: 48
; NumVGPRsForWavesPerEU: 19
; Occupancy: 10
; WaveLimiterHint : 1
; COMPUTE_PGM_RSRC2:SCRATCH_EN: 0
; COMPUTE_PGM_RSRC2:USER_SGPR: 6
; COMPUTE_PGM_RSRC2:TRAP_HANDLER: 0
; COMPUTE_PGM_RSRC2:TGID_X_EN: 1
; COMPUTE_PGM_RSRC2:TGID_Y_EN: 1
; COMPUTE_PGM_RSRC2:TGID_Z_EN: 1
; COMPUTE_PGM_RSRC2:TIDIG_COMP_CNT: 2
	.section	.text._ZL19k_bin_bcast_unravelIXadL_ZL6op_mulffEEfffJPKfS1_S1_S1_S1_EEvPKT0_PKT1_PT2_15HIP_vector_typeIjLj3EESB_SB_jSB_SB_SB_SB_SB_SB_iiiiiiiiiiiDpT3_,"axG",@progbits,_ZL19k_bin_bcast_unravelIXadL_ZL6op_mulffEEfffJPKfS1_S1_S1_S1_EEvPKT0_PKT1_PT2_15HIP_vector_typeIjLj3EESB_SB_jSB_SB_SB_SB_SB_SB_iiiiiiiiiiiDpT3_,comdat
	.globl	_ZL19k_bin_bcast_unravelIXadL_ZL6op_mulffEEfffJPKfS1_S1_S1_S1_EEvPKT0_PKT1_PT2_15HIP_vector_typeIjLj3EESB_SB_jSB_SB_SB_SB_SB_SB_iiiiiiiiiiiDpT3_ ; -- Begin function _ZL19k_bin_bcast_unravelIXadL_ZL6op_mulffEEfffJPKfS1_S1_S1_S1_EEvPKT0_PKT1_PT2_15HIP_vector_typeIjLj3EESB_SB_jSB_SB_SB_SB_SB_SB_iiiiiiiiiiiDpT3_
	.p2align	8
	.type	_ZL19k_bin_bcast_unravelIXadL_ZL6op_mulffEEfffJPKfS1_S1_S1_S1_EEvPKT0_PKT1_PT2_15HIP_vector_typeIjLj3EESB_SB_jSB_SB_SB_SB_SB_SB_iiiiiiiiiiiDpT3_,@function
_ZL19k_bin_bcast_unravelIXadL_ZL6op_mulffEEfffJPKfS1_S1_S1_S1_EEvPKT0_PKT1_PT2_15HIP_vector_typeIjLj3EESB_SB_jSB_SB_SB_SB_SB_SB_iiiiiiiiiiiDpT3_: ; @_ZL19k_bin_bcast_unravelIXadL_ZL6op_mulffEEfffJPKfS1_S1_S1_S1_EEvPKT0_PKT1_PT2_15HIP_vector_typeIjLj3EESB_SB_jSB_SB_SB_SB_SB_SB_iiiiiiiiiiiDpT3_
; %bb.0:
	s_load_dword s0, s[4:5], 0xec
	s_load_dwordx8 s[8:15], s[4:5], 0x38
	s_waitcnt lgkmcnt(0)
	s_and_b32 s0, s0, 0xffff
	s_mul_i32 s6, s6, s0
	v_add_u32_e32 v0, s6, v0
	v_mul_hi_u32 v1, v0, s10
	s_load_dwordx4 s[0:3], s[4:5], 0x18
	s_waitcnt lgkmcnt(0)
	s_load_dword s3, s[4:5], 0x2c
	v_add_u32_e32 v1, v0, v1
	v_lshrrev_b32_e32 v1, s11, v1
	v_mul_lo_u32 v2, v1, s12
	v_sub_u32_e32 v0, v0, v2
	v_mul_hi_u32 v2, v0, s13
	v_add_u32_e32 v2, v0, v2
	v_lshrrev_b32_e32 v3, s14, v2
	v_mul_lo_u32 v2, v3, s15
	v_cmp_gt_u32_e32 vcc, s8, v3
	v_sub_u32_e32 v0, v0, v2
	v_mul_hi_u32 v2, v0, s0
	v_add_u32_e32 v2, v0, v2
	v_lshrrev_b32_e32 v4, s1, v2
	v_mul_lo_u32 v2, v4, s2
	s_waitcnt lgkmcnt(0)
	v_cmp_gt_u32_e64 s[0:1], s3, v4
	v_sub_u32_e32 v0, v0, v2
	v_cmp_gt_u32_e64 s[2:3], s2, v0
	s_and_b64 s[0:1], s[2:3], s[0:1]
	s_and_b64 s[0:1], s[0:1], vcc
	v_cmp_gt_u32_e32 vcc, s9, v1
	s_and_b64 s[0:1], vcc, s[0:1]
	s_and_saveexec_b64 s[2:3], s[0:1]
	s_cbranch_execz .LBB120_4
; %bb.1:
	s_load_dwordx2 s[6:7], s[4:5], 0x0
	s_load_dwordx4 s[0:3], s[4:5], 0xa8
	s_load_dwordx8 s[8:15], s[4:5], 0x88
	s_load_dwordx4 s[24:27], s[4:5], 0x78
	s_load_dwordx8 s[16:23], s[4:5], 0x58
	v_mov_b32_e32 v2, 0
	s_waitcnt lgkmcnt(0)
	s_cmp_eq_u64 s[6:7], 0
	v_mov_b32_e32 v5, 0
	s_cbranch_scc1 .LBB120_3
; %bb.2:
	v_mul_lo_u32 v5, v1, s14
	v_mul_lo_u32 v7, v3, s13
	;; [unrolled: 1-line block ×3, first 2 shown]
	v_mov_b32_e32 v6, 0
	v_mov_b32_e32 v9, s7
	v_add3_u32 v5, v7, v5, v8
	v_lshlrev_b64 v[7:8], 2, v[5:6]
	v_mul_lo_u32 v5, v0, s11
	v_add_co_u32_e32 v7, vcc, s6, v7
	v_addc_co_u32_e32 v8, vcc, v9, v8, vcc
	v_lshlrev_b64 v[5:6], 2, v[5:6]
	v_add_co_u32_e32 v5, vcc, v7, v5
	v_addc_co_u32_e32 v6, vcc, v8, v6, vcc
	global_load_dword v5, v[5:6], off
.LBB120_3:
	v_mul_hi_u32 v6, s19, v4
	v_mul_hi_u32 v7, s22, v3
	;; [unrolled: 1-line block ×4, first 2 shown]
	v_add_u32_e32 v6, v4, v6
	v_add_u32_e32 v7, v3, v7
	v_add_u32_e32 v8, v1, v8
	v_lshrrev_b32_e32 v6, s20, v6
	v_lshrrev_b32_e32 v7, s23, v7
	;; [unrolled: 1-line block ×3, first 2 shown]
	v_mul_lo_u32 v6, v6, s21
	v_mul_lo_u32 v7, v7, s24
	;; [unrolled: 1-line block ×3, first 2 shown]
	v_add_u32_e32 v9, v0, v9
	v_sub_u32_e32 v6, v4, v6
	v_sub_u32_e32 v7, v3, v7
	;; [unrolled: 1-line block ×3, first 2 shown]
	v_lshrrev_b32_e32 v9, s17, v9
	v_mul_lo_u32 v8, v8, s2
	v_mul_lo_u32 v7, v7, s1
	;; [unrolled: 1-line block ×5, first 2 shown]
	v_add3_u32 v6, v7, v8, v6
	v_sub_u32_e32 v7, v0, v9
	v_mul_lo_u32 v7, v7, s15
	s_load_dwordx2 s[0:1], s[4:5], 0xd8
	s_load_dwordx8 s[12:19], s[4:5], 0xb8
	v_ashrrev_i32_e32 v8, 31, v6
	v_ashrrev_i32_e32 v9, 31, v7
	v_add_co_u32_e32 v6, vcc, v7, v6
	v_addc_co_u32_e32 v7, vcc, v9, v8, vcc
	v_lshlrev_b64 v[6:7], 2, v[6:7]
	s_waitcnt lgkmcnt(0)
	v_mov_b32_e32 v9, s13
	v_add_co_u32_e32 v8, vcc, s12, v6
	v_addc_co_u32_e32 v9, vcc, v9, v7, vcc
	global_load_dword v10, v[8:9], off
	v_mov_b32_e32 v9, s15
	v_add_co_u32_e32 v8, vcc, s14, v6
	v_addc_co_u32_e32 v9, vcc, v9, v7, vcc
	global_load_dword v11, v[8:9], off
	;; [unrolled: 4-line block ×5, first 2 shown]
	v_mul_lo_u32 v7, v1, s10
	v_mul_lo_u32 v9, v3, s9
	s_load_dwordx2 s[0:1], s[4:5], 0x10
	v_mov_b32_e32 v1, v2
	v_lshlrev_b64 v[3:4], 2, v[0:1]
	v_add3_u32 v1, v9, v7, v13
	v_lshlrev_b64 v[0:1], 2, v[1:2]
	s_waitcnt lgkmcnt(0)
	v_mov_b32_e32 v2, s1
	v_add_co_u32_e32 v0, vcc, s0, v0
	v_addc_co_u32_e32 v1, vcc, v2, v1, vcc
	v_add_co_u32_e32 v0, vcc, v0, v3
	v_addc_co_u32_e32 v1, vcc, v1, v4, vcc
	s_waitcnt vmcnt(4)
	v_mul_f32_e32 v2, v5, v10
	s_waitcnt vmcnt(3)
	v_mul_f32_e32 v2, v2, v11
	;; [unrolled: 2-line block ×5, first 2 shown]
	global_store_dword v[0:1], v2, off
.LBB120_4:
	s_endpgm
	.section	.rodata,"a",@progbits
	.p2align	6, 0x0
	.amdhsa_kernel _ZL19k_bin_bcast_unravelIXadL_ZL6op_mulffEEfffJPKfS1_S1_S1_S1_EEvPKT0_PKT1_PT2_15HIP_vector_typeIjLj3EESB_SB_jSB_SB_SB_SB_SB_SB_iiiiiiiiiiiDpT3_
		.amdhsa_group_segment_fixed_size 0
		.amdhsa_private_segment_fixed_size 0
		.amdhsa_kernarg_size 480
		.amdhsa_user_sgpr_count 6
		.amdhsa_user_sgpr_private_segment_buffer 1
		.amdhsa_user_sgpr_dispatch_ptr 0
		.amdhsa_user_sgpr_queue_ptr 0
		.amdhsa_user_sgpr_kernarg_segment_ptr 1
		.amdhsa_user_sgpr_dispatch_id 0
		.amdhsa_user_sgpr_flat_scratch_init 0
		.amdhsa_user_sgpr_private_segment_size 0
		.amdhsa_uses_dynamic_stack 0
		.amdhsa_system_sgpr_private_segment_wavefront_offset 0
		.amdhsa_system_sgpr_workgroup_id_x 1
		.amdhsa_system_sgpr_workgroup_id_y 0
		.amdhsa_system_sgpr_workgroup_id_z 0
		.amdhsa_system_sgpr_workgroup_info 0
		.amdhsa_system_vgpr_workitem_id 0
		.amdhsa_next_free_vgpr 14
		.amdhsa_next_free_sgpr 28
		.amdhsa_reserve_vcc 1
		.amdhsa_reserve_flat_scratch 0
		.amdhsa_float_round_mode_32 0
		.amdhsa_float_round_mode_16_64 0
		.amdhsa_float_denorm_mode_32 3
		.amdhsa_float_denorm_mode_16_64 3
		.amdhsa_dx10_clamp 1
		.amdhsa_ieee_mode 1
		.amdhsa_fp16_overflow 0
		.amdhsa_exception_fp_ieee_invalid_op 0
		.amdhsa_exception_fp_denorm_src 0
		.amdhsa_exception_fp_ieee_div_zero 0
		.amdhsa_exception_fp_ieee_overflow 0
		.amdhsa_exception_fp_ieee_underflow 0
		.amdhsa_exception_fp_ieee_inexact 0
		.amdhsa_exception_int_div_zero 0
	.end_amdhsa_kernel
	.section	.text._ZL19k_bin_bcast_unravelIXadL_ZL6op_mulffEEfffJPKfS1_S1_S1_S1_EEvPKT0_PKT1_PT2_15HIP_vector_typeIjLj3EESB_SB_jSB_SB_SB_SB_SB_SB_iiiiiiiiiiiDpT3_,"axG",@progbits,_ZL19k_bin_bcast_unravelIXadL_ZL6op_mulffEEfffJPKfS1_S1_S1_S1_EEvPKT0_PKT1_PT2_15HIP_vector_typeIjLj3EESB_SB_jSB_SB_SB_SB_SB_SB_iiiiiiiiiiiDpT3_,comdat
.Lfunc_end120:
	.size	_ZL19k_bin_bcast_unravelIXadL_ZL6op_mulffEEfffJPKfS1_S1_S1_S1_EEvPKT0_PKT1_PT2_15HIP_vector_typeIjLj3EESB_SB_jSB_SB_SB_SB_SB_SB_iiiiiiiiiiiDpT3_, .Lfunc_end120-_ZL19k_bin_bcast_unravelIXadL_ZL6op_mulffEEfffJPKfS1_S1_S1_S1_EEvPKT0_PKT1_PT2_15HIP_vector_typeIjLj3EESB_SB_jSB_SB_SB_SB_SB_SB_iiiiiiiiiiiDpT3_
                                        ; -- End function
	.set _ZL19k_bin_bcast_unravelIXadL_ZL6op_mulffEEfffJPKfS1_S1_S1_S1_EEvPKT0_PKT1_PT2_15HIP_vector_typeIjLj3EESB_SB_jSB_SB_SB_SB_SB_SB_iiiiiiiiiiiDpT3_.num_vgpr, 14
	.set _ZL19k_bin_bcast_unravelIXadL_ZL6op_mulffEEfffJPKfS1_S1_S1_S1_EEvPKT0_PKT1_PT2_15HIP_vector_typeIjLj3EESB_SB_jSB_SB_SB_SB_SB_SB_iiiiiiiiiiiDpT3_.num_agpr, 0
	.set _ZL19k_bin_bcast_unravelIXadL_ZL6op_mulffEEfffJPKfS1_S1_S1_S1_EEvPKT0_PKT1_PT2_15HIP_vector_typeIjLj3EESB_SB_jSB_SB_SB_SB_SB_SB_iiiiiiiiiiiDpT3_.numbered_sgpr, 28
	.set _ZL19k_bin_bcast_unravelIXadL_ZL6op_mulffEEfffJPKfS1_S1_S1_S1_EEvPKT0_PKT1_PT2_15HIP_vector_typeIjLj3EESB_SB_jSB_SB_SB_SB_SB_SB_iiiiiiiiiiiDpT3_.num_named_barrier, 0
	.set _ZL19k_bin_bcast_unravelIXadL_ZL6op_mulffEEfffJPKfS1_S1_S1_S1_EEvPKT0_PKT1_PT2_15HIP_vector_typeIjLj3EESB_SB_jSB_SB_SB_SB_SB_SB_iiiiiiiiiiiDpT3_.private_seg_size, 0
	.set _ZL19k_bin_bcast_unravelIXadL_ZL6op_mulffEEfffJPKfS1_S1_S1_S1_EEvPKT0_PKT1_PT2_15HIP_vector_typeIjLj3EESB_SB_jSB_SB_SB_SB_SB_SB_iiiiiiiiiiiDpT3_.uses_vcc, 1
	.set _ZL19k_bin_bcast_unravelIXadL_ZL6op_mulffEEfffJPKfS1_S1_S1_S1_EEvPKT0_PKT1_PT2_15HIP_vector_typeIjLj3EESB_SB_jSB_SB_SB_SB_SB_SB_iiiiiiiiiiiDpT3_.uses_flat_scratch, 0
	.set _ZL19k_bin_bcast_unravelIXadL_ZL6op_mulffEEfffJPKfS1_S1_S1_S1_EEvPKT0_PKT1_PT2_15HIP_vector_typeIjLj3EESB_SB_jSB_SB_SB_SB_SB_SB_iiiiiiiiiiiDpT3_.has_dyn_sized_stack, 0
	.set _ZL19k_bin_bcast_unravelIXadL_ZL6op_mulffEEfffJPKfS1_S1_S1_S1_EEvPKT0_PKT1_PT2_15HIP_vector_typeIjLj3EESB_SB_jSB_SB_SB_SB_SB_SB_iiiiiiiiiiiDpT3_.has_recursion, 0
	.set _ZL19k_bin_bcast_unravelIXadL_ZL6op_mulffEEfffJPKfS1_S1_S1_S1_EEvPKT0_PKT1_PT2_15HIP_vector_typeIjLj3EESB_SB_jSB_SB_SB_SB_SB_SB_iiiiiiiiiiiDpT3_.has_indirect_call, 0
	.section	.AMDGPU.csdata,"",@progbits
; Kernel info:
; codeLenInByte = 768
; TotalNumSgprs: 32
; NumVgprs: 14
; ScratchSize: 0
; MemoryBound: 0
; FloatMode: 240
; IeeeMode: 1
; LDSByteSize: 0 bytes/workgroup (compile time only)
; SGPRBlocks: 3
; VGPRBlocks: 3
; NumSGPRsForWavesPerEU: 32
; NumVGPRsForWavesPerEU: 14
; Occupancy: 10
; WaveLimiterHint : 1
; COMPUTE_PGM_RSRC2:SCRATCH_EN: 0
; COMPUTE_PGM_RSRC2:USER_SGPR: 6
; COMPUTE_PGM_RSRC2:TRAP_HANDLER: 0
; COMPUTE_PGM_RSRC2:TGID_X_EN: 1
; COMPUTE_PGM_RSRC2:TGID_Y_EN: 0
; COMPUTE_PGM_RSRC2:TGID_Z_EN: 0
; COMPUTE_PGM_RSRC2:TIDIG_COMP_CNT: 0
	.section	.text._ZL11k_bin_bcastIXadL_ZL6op_mulffEEfffJPKfS1_S1_S1_S1_EEvPKT0_PKT1_PT2_iii15HIP_vector_typeIjLj3EESB_SB_SB_SB_iiiiiiiiiiiDpT3_,"axG",@progbits,_ZL11k_bin_bcastIXadL_ZL6op_mulffEEfffJPKfS1_S1_S1_S1_EEvPKT0_PKT1_PT2_iii15HIP_vector_typeIjLj3EESB_SB_SB_SB_iiiiiiiiiiiDpT3_,comdat
	.globl	_ZL11k_bin_bcastIXadL_ZL6op_mulffEEfffJPKfS1_S1_S1_S1_EEvPKT0_PKT1_PT2_iii15HIP_vector_typeIjLj3EESB_SB_SB_SB_iiiiiiiiiiiDpT3_ ; -- Begin function _ZL11k_bin_bcastIXadL_ZL6op_mulffEEfffJPKfS1_S1_S1_S1_EEvPKT0_PKT1_PT2_iii15HIP_vector_typeIjLj3EESB_SB_SB_SB_iiiiiiiiiiiDpT3_
	.p2align	8
	.type	_ZL11k_bin_bcastIXadL_ZL6op_mulffEEfffJPKfS1_S1_S1_S1_EEvPKT0_PKT1_PT2_iii15HIP_vector_typeIjLj3EESB_SB_SB_SB_iiiiiiiiiiiDpT3_,@function
_ZL11k_bin_bcastIXadL_ZL6op_mulffEEfffJPKfS1_S1_S1_S1_EEvPKT0_PKT1_PT2_iii15HIP_vector_typeIjLj3EESB_SB_SB_SB_iiiiiiiiiiiDpT3_: ; @_ZL11k_bin_bcastIXadL_ZL6op_mulffEEfffJPKfS1_S1_S1_S1_EEvPKT0_PKT1_PT2_iii15HIP_vector_typeIjLj3EESB_SB_SB_SB_iiiiiiiiiiiDpT3_
; %bb.0:
	s_load_dwordx2 s[0:1], s[4:5], 0xc4
	s_load_dwordx8 s[12:19], s[4:5], 0x18
	s_add_u32 s2, s4, 0xb8
	s_addc_u32 s3, s5, 0
	s_waitcnt lgkmcnt(0)
	s_and_b32 s1, s1, 0xffff
	s_mul_i32 s8, s8, s1
	v_add_u32_e32 v3, s8, v2
	v_mul_hi_u32 v2, v3, s15
	s_lshr_b32 s1, s0, 16
	s_and_b32 s8, s0, 0xffff
	s_mul_i32 s6, s6, s8
	v_add_u32_e32 v2, v3, v2
	v_lshrrev_b32_e32 v2, s16, v2
	v_mul_lo_u32 v4, v2, s17
	s_mul_i32 s7, s7, s1
	v_add_u32_e32 v0, s6, v0
	v_add_u32_e32 v1, s7, v1
	v_cmp_gt_u32_e32 vcc, s12, v0
	v_cmp_gt_u32_e64 s[0:1], s13, v1
	v_sub_u32_e32 v3, v3, v4
	s_and_b64 s[0:1], vcc, s[0:1]
	v_cmp_gt_u32_e32 vcc, s14, v2
	s_and_b64 s[0:1], s[0:1], vcc
	v_cmp_gt_u32_e32 vcc, s17, v3
	s_and_b64 s[0:1], s[0:1], vcc
	s_and_saveexec_b64 s[6:7], s[0:1]
	s_cbranch_execz .LBB121_6
; %bb.1:
	v_cmp_gt_i32_e32 vcc, s12, v0
	s_and_b64 exec, exec, vcc
	s_cbranch_execz .LBB121_6
; %bb.2:
	s_load_dwordx8 s[36:43], s[4:5], 0x3c
	s_load_dwordx8 s[20:27], s[4:5], 0x60
	s_load_dwordx4 s[28:31], s[4:5], 0x80
	s_load_dword s9, s[2:3], 0x0
	s_load_dword s0, s[4:5], 0x5c
	s_waitcnt lgkmcnt(0)
	v_mul_hi_u32 v4, s36, v1
	v_mul_hi_u32 v5, s39, v2
	;; [unrolled: 1-line block ×3, first 2 shown]
	v_mul_lo_u32 v7, v3, s26
	v_add_u32_e32 v4, v1, v4
	v_add_u32_e32 v5, v2, v5
	;; [unrolled: 1-line block ×3, first 2 shown]
	v_lshrrev_b32_e32 v4, s37, v4
	v_lshrrev_b32_e32 v5, s40, v5
	;; [unrolled: 1-line block ×3, first 2 shown]
	v_mul_lo_u32 v4, v4, s38
	v_mul_lo_u32 v5, v5, s41
	v_mul_lo_u32 v6, v6, s0
	v_mul_lo_u32 v8, v2, s25
	v_mul_lo_u32 v9, v1, s24
	v_sub_u32_e32 v4, v1, v4
	v_sub_u32_e32 v5, v2, v5
	;; [unrolled: 1-line block ×3, first 2 shown]
	s_load_dword s10, s[4:5], 0x38
	s_load_dwordx2 s[0:1], s[4:5], 0x0
	s_load_dwordx2 s[2:3], s[4:5], 0x10
	v_mul_lo_u32 v6, v6, s30
	v_mul_lo_u32 v5, v5, s29
	;; [unrolled: 1-line block ×6, first 2 shown]
	v_add3_u32 v1, v8, v9, v7
	v_mov_b32_e32 v2, 0
	v_mov_b32_e32 v8, v2
	v_lshlrev_b64 v[1:2], 2, v[1:2]
	v_add3_u32 v4, v5, v6, v4
	v_add3_u32 v7, v10, v11, v3
	s_waitcnt lgkmcnt(0)
	v_mov_b32_e32 v3, s1
	v_add_co_u32_e32 v5, vcc, s0, v1
	v_addc_co_u32_e32 v6, vcc, v3, v2, vcc
	v_lshlrev_b64 v[1:2], 2, v[7:8]
	s_load_dwordx2 s[6:7], s[4:5], 0xb0
	s_load_dwordx8 s[36:43], s[4:5], 0x90
	v_mov_b32_e32 v3, s3
	v_add_co_u32_e32 v7, vcc, s2, v1
	v_addc_co_u32_e32 v8, vcc, v3, v2, vcc
	s_cmp_lg_u64 s[0:1], 0
	v_mul_lo_u32 v2, s23, v0
	s_cselect_b64 s[0:1], -1, 0
	s_mul_i32 s8, s9, s8
	v_cndmask_b32_e64 v1, 0, 1, s[0:1]
	s_mov_b64 s[4:5], 0
	s_mul_i32 s9, s8, s23
	s_sub_i32 s10, 0, s10
	v_cmp_ne_u32_e64 s[0:1], 1, v1
	s_waitcnt lgkmcnt(0)
	v_mov_b32_e32 v9, s37
	v_mov_b32_e32 v10, s39
	;; [unrolled: 1-line block ×5, first 2 shown]
	s_branch .LBB121_4
.LBB121_3:                              ;   in Loop: Header=BB121_4 Depth=1
	v_mul_hi_u32 v1, s18, v0
	v_add_u32_e32 v2, s9, v2
	v_add_u32_e32 v1, v0, v1
	v_lshrrev_b32_e32 v1, s19, v1
	v_mad_u64_u32 v[14:15], s[2:3], s10, v1, v[0:1]
	v_mul_lo_u32 v1, v14, s27
	v_add_co_u32_e32 v14, vcc, v1, v4
	v_addc_co_u32_e64 v15, s[2:3], 0, 0, vcc
	v_lshlrev_b64 v[14:15], 2, v[14:15]
	v_ashrrev_i32_e32 v1, 31, v0
	v_add_co_u32_e32 v16, vcc, s36, v14
	v_addc_co_u32_e32 v17, vcc, v9, v15, vcc
	v_add_co_u32_e32 v18, vcc, s38, v14
	v_addc_co_u32_e32 v19, vcc, v10, v15, vcc
	;; [unrolled: 2-line block ×5, first 2 shown]
	global_load_dword v24, v[16:17], off
	global_load_dword v25, v[18:19], off
	;; [unrolled: 1-line block ×5, first 2 shown]
	v_lshlrev_b64 v[14:15], 2, v[0:1]
	v_add_u32_e32 v0, s8, v0
	v_cmp_le_i32_e32 vcc, s12, v0
	v_add_co_u32_e64 v14, s[2:3], v7, v14
	v_addc_co_u32_e64 v15, s[2:3], v8, v15, s[2:3]
	s_or_b64 s[4:5], vcc, s[4:5]
	s_waitcnt vmcnt(4)
	v_mul_f32_e32 v1, v3, v24
	s_waitcnt vmcnt(3)
	v_mul_f32_e32 v1, v1, v25
	;; [unrolled: 2-line block ×5, first 2 shown]
	global_store_dword v[14:15], v1, off
	s_andn2_b64 exec, exec, s[4:5]
	s_cbranch_execz .LBB121_6
.LBB121_4:                              ; =>This Inner Loop Header: Depth=1
	s_and_b64 vcc, exec, s[0:1]
	v_mov_b32_e32 v3, 0
	s_cbranch_vccnz .LBB121_3
; %bb.5:                                ;   in Loop: Header=BB121_4 Depth=1
	v_ashrrev_i32_e32 v3, 31, v2
	v_lshlrev_b64 v[14:15], 2, v[2:3]
	v_add_co_u32_e32 v14, vcc, v5, v14
	v_addc_co_u32_e32 v15, vcc, v6, v15, vcc
	global_load_dword v3, v[14:15], off
	s_branch .LBB121_3
.LBB121_6:
	s_endpgm
	.section	.rodata,"a",@progbits
	.p2align	6, 0x0
	.amdhsa_kernel _ZL11k_bin_bcastIXadL_ZL6op_mulffEEfffJPKfS1_S1_S1_S1_EEvPKT0_PKT1_PT2_iii15HIP_vector_typeIjLj3EESB_SB_SB_SB_iiiiiiiiiiiDpT3_
		.amdhsa_group_segment_fixed_size 0
		.amdhsa_private_segment_fixed_size 0
		.amdhsa_kernarg_size 440
		.amdhsa_user_sgpr_count 6
		.amdhsa_user_sgpr_private_segment_buffer 1
		.amdhsa_user_sgpr_dispatch_ptr 0
		.amdhsa_user_sgpr_queue_ptr 0
		.amdhsa_user_sgpr_kernarg_segment_ptr 1
		.amdhsa_user_sgpr_dispatch_id 0
		.amdhsa_user_sgpr_flat_scratch_init 0
		.amdhsa_user_sgpr_private_segment_size 0
		.amdhsa_uses_dynamic_stack 0
		.amdhsa_system_sgpr_private_segment_wavefront_offset 0
		.amdhsa_system_sgpr_workgroup_id_x 1
		.amdhsa_system_sgpr_workgroup_id_y 1
		.amdhsa_system_sgpr_workgroup_id_z 1
		.amdhsa_system_sgpr_workgroup_info 0
		.amdhsa_system_vgpr_workitem_id 2
		.amdhsa_next_free_vgpr 29
		.amdhsa_next_free_sgpr 44
		.amdhsa_reserve_vcc 1
		.amdhsa_reserve_flat_scratch 0
		.amdhsa_float_round_mode_32 0
		.amdhsa_float_round_mode_16_64 0
		.amdhsa_float_denorm_mode_32 3
		.amdhsa_float_denorm_mode_16_64 3
		.amdhsa_dx10_clamp 1
		.amdhsa_ieee_mode 1
		.amdhsa_fp16_overflow 0
		.amdhsa_exception_fp_ieee_invalid_op 0
		.amdhsa_exception_fp_denorm_src 0
		.amdhsa_exception_fp_ieee_div_zero 0
		.amdhsa_exception_fp_ieee_overflow 0
		.amdhsa_exception_fp_ieee_underflow 0
		.amdhsa_exception_fp_ieee_inexact 0
		.amdhsa_exception_int_div_zero 0
	.end_amdhsa_kernel
	.section	.text._ZL11k_bin_bcastIXadL_ZL6op_mulffEEfffJPKfS1_S1_S1_S1_EEvPKT0_PKT1_PT2_iii15HIP_vector_typeIjLj3EESB_SB_SB_SB_iiiiiiiiiiiDpT3_,"axG",@progbits,_ZL11k_bin_bcastIXadL_ZL6op_mulffEEfffJPKfS1_S1_S1_S1_EEvPKT0_PKT1_PT2_iii15HIP_vector_typeIjLj3EESB_SB_SB_SB_iiiiiiiiiiiDpT3_,comdat
.Lfunc_end121:
	.size	_ZL11k_bin_bcastIXadL_ZL6op_mulffEEfffJPKfS1_S1_S1_S1_EEvPKT0_PKT1_PT2_iii15HIP_vector_typeIjLj3EESB_SB_SB_SB_iiiiiiiiiiiDpT3_, .Lfunc_end121-_ZL11k_bin_bcastIXadL_ZL6op_mulffEEfffJPKfS1_S1_S1_S1_EEvPKT0_PKT1_PT2_iii15HIP_vector_typeIjLj3EESB_SB_SB_SB_iiiiiiiiiiiDpT3_
                                        ; -- End function
	.set _ZL11k_bin_bcastIXadL_ZL6op_mulffEEfffJPKfS1_S1_S1_S1_EEvPKT0_PKT1_PT2_iii15HIP_vector_typeIjLj3EESB_SB_SB_SB_iiiiiiiiiiiDpT3_.num_vgpr, 29
	.set _ZL11k_bin_bcastIXadL_ZL6op_mulffEEfffJPKfS1_S1_S1_S1_EEvPKT0_PKT1_PT2_iii15HIP_vector_typeIjLj3EESB_SB_SB_SB_iiiiiiiiiiiDpT3_.num_agpr, 0
	.set _ZL11k_bin_bcastIXadL_ZL6op_mulffEEfffJPKfS1_S1_S1_S1_EEvPKT0_PKT1_PT2_iii15HIP_vector_typeIjLj3EESB_SB_SB_SB_iiiiiiiiiiiDpT3_.numbered_sgpr, 44
	.set _ZL11k_bin_bcastIXadL_ZL6op_mulffEEfffJPKfS1_S1_S1_S1_EEvPKT0_PKT1_PT2_iii15HIP_vector_typeIjLj3EESB_SB_SB_SB_iiiiiiiiiiiDpT3_.num_named_barrier, 0
	.set _ZL11k_bin_bcastIXadL_ZL6op_mulffEEfffJPKfS1_S1_S1_S1_EEvPKT0_PKT1_PT2_iii15HIP_vector_typeIjLj3EESB_SB_SB_SB_iiiiiiiiiiiDpT3_.private_seg_size, 0
	.set _ZL11k_bin_bcastIXadL_ZL6op_mulffEEfffJPKfS1_S1_S1_S1_EEvPKT0_PKT1_PT2_iii15HIP_vector_typeIjLj3EESB_SB_SB_SB_iiiiiiiiiiiDpT3_.uses_vcc, 1
	.set _ZL11k_bin_bcastIXadL_ZL6op_mulffEEfffJPKfS1_S1_S1_S1_EEvPKT0_PKT1_PT2_iii15HIP_vector_typeIjLj3EESB_SB_SB_SB_iiiiiiiiiiiDpT3_.uses_flat_scratch, 0
	.set _ZL11k_bin_bcastIXadL_ZL6op_mulffEEfffJPKfS1_S1_S1_S1_EEvPKT0_PKT1_PT2_iii15HIP_vector_typeIjLj3EESB_SB_SB_SB_iiiiiiiiiiiDpT3_.has_dyn_sized_stack, 0
	.set _ZL11k_bin_bcastIXadL_ZL6op_mulffEEfffJPKfS1_S1_S1_S1_EEvPKT0_PKT1_PT2_iii15HIP_vector_typeIjLj3EESB_SB_SB_SB_iiiiiiiiiiiDpT3_.has_recursion, 0
	.set _ZL11k_bin_bcastIXadL_ZL6op_mulffEEfffJPKfS1_S1_S1_S1_EEvPKT0_PKT1_PT2_iii15HIP_vector_typeIjLj3EESB_SB_SB_SB_iiiiiiiiiiiDpT3_.has_indirect_call, 0
	.section	.AMDGPU.csdata,"",@progbits
; Kernel info:
; codeLenInByte = 828
; TotalNumSgprs: 48
; NumVgprs: 29
; ScratchSize: 0
; MemoryBound: 0
; FloatMode: 240
; IeeeMode: 1
; LDSByteSize: 0 bytes/workgroup (compile time only)
; SGPRBlocks: 5
; VGPRBlocks: 7
; NumSGPRsForWavesPerEU: 48
; NumVGPRsForWavesPerEU: 29
; Occupancy: 8
; WaveLimiterHint : 1
; COMPUTE_PGM_RSRC2:SCRATCH_EN: 0
; COMPUTE_PGM_RSRC2:USER_SGPR: 6
; COMPUTE_PGM_RSRC2:TRAP_HANDLER: 0
; COMPUTE_PGM_RSRC2:TGID_X_EN: 1
; COMPUTE_PGM_RSRC2:TGID_Y_EN: 1
; COMPUTE_PGM_RSRC2:TGID_Z_EN: 1
; COMPUTE_PGM_RSRC2:TIDIG_COMP_CNT: 2
	.section	.text._ZL19k_bin_bcast_unravelIXadL_ZL6op_mulffEE6__halfS0_S0_JPKS0_S2_S2_S2_S2_EEvPKT0_PKT1_PT2_15HIP_vector_typeIjLj3EESC_SC_jSC_SC_SC_SC_SC_SC_iiiiiiiiiiiDpT3_,"axG",@progbits,_ZL19k_bin_bcast_unravelIXadL_ZL6op_mulffEE6__halfS0_S0_JPKS0_S2_S2_S2_S2_EEvPKT0_PKT1_PT2_15HIP_vector_typeIjLj3EESC_SC_jSC_SC_SC_SC_SC_SC_iiiiiiiiiiiDpT3_,comdat
	.globl	_ZL19k_bin_bcast_unravelIXadL_ZL6op_mulffEE6__halfS0_S0_JPKS0_S2_S2_S2_S2_EEvPKT0_PKT1_PT2_15HIP_vector_typeIjLj3EESC_SC_jSC_SC_SC_SC_SC_SC_iiiiiiiiiiiDpT3_ ; -- Begin function _ZL19k_bin_bcast_unravelIXadL_ZL6op_mulffEE6__halfS0_S0_JPKS0_S2_S2_S2_S2_EEvPKT0_PKT1_PT2_15HIP_vector_typeIjLj3EESC_SC_jSC_SC_SC_SC_SC_SC_iiiiiiiiiiiDpT3_
	.p2align	8
	.type	_ZL19k_bin_bcast_unravelIXadL_ZL6op_mulffEE6__halfS0_S0_JPKS0_S2_S2_S2_S2_EEvPKT0_PKT1_PT2_15HIP_vector_typeIjLj3EESC_SC_jSC_SC_SC_SC_SC_SC_iiiiiiiiiiiDpT3_,@function
_ZL19k_bin_bcast_unravelIXadL_ZL6op_mulffEE6__halfS0_S0_JPKS0_S2_S2_S2_S2_EEvPKT0_PKT1_PT2_15HIP_vector_typeIjLj3EESC_SC_jSC_SC_SC_SC_SC_SC_iiiiiiiiiiiDpT3_: ; @_ZL19k_bin_bcast_unravelIXadL_ZL6op_mulffEE6__halfS0_S0_JPKS0_S2_S2_S2_S2_EEvPKT0_PKT1_PT2_15HIP_vector_typeIjLj3EESC_SC_jSC_SC_SC_SC_SC_SC_iiiiiiiiiiiDpT3_
; %bb.0:
	s_load_dword s0, s[4:5], 0xec
	s_load_dwordx8 s[8:15], s[4:5], 0x38
	s_waitcnt lgkmcnt(0)
	s_and_b32 s0, s0, 0xffff
	s_mul_i32 s6, s6, s0
	v_add_u32_e32 v0, s6, v0
	v_mul_hi_u32 v1, v0, s10
	s_load_dwordx4 s[0:3], s[4:5], 0x18
	s_waitcnt lgkmcnt(0)
	s_load_dword s3, s[4:5], 0x2c
	v_add_u32_e32 v1, v0, v1
	v_lshrrev_b32_e32 v1, s11, v1
	v_mul_lo_u32 v2, v1, s12
	v_sub_u32_e32 v0, v0, v2
	v_mul_hi_u32 v2, v0, s13
	v_add_u32_e32 v2, v0, v2
	v_lshrrev_b32_e32 v3, s14, v2
	v_mul_lo_u32 v2, v3, s15
	v_cmp_gt_u32_e32 vcc, s8, v3
	v_sub_u32_e32 v0, v0, v2
	v_mul_hi_u32 v2, v0, s0
	v_add_u32_e32 v2, v0, v2
	v_lshrrev_b32_e32 v4, s1, v2
	v_mul_lo_u32 v2, v4, s2
	s_waitcnt lgkmcnt(0)
	v_cmp_gt_u32_e64 s[0:1], s3, v4
	v_sub_u32_e32 v0, v0, v2
	v_cmp_gt_u32_e64 s[2:3], s2, v0
	s_and_b64 s[0:1], s[2:3], s[0:1]
	s_and_b64 s[0:1], s[0:1], vcc
	v_cmp_gt_u32_e32 vcc, s9, v1
	s_and_b64 s[0:1], vcc, s[0:1]
	s_and_saveexec_b64 s[2:3], s[0:1]
	s_cbranch_execz .LBB122_4
; %bb.1:
	s_load_dwordx2 s[6:7], s[4:5], 0x0
	s_load_dwordx4 s[0:3], s[4:5], 0xa8
	s_load_dwordx8 s[8:15], s[4:5], 0x88
	s_load_dwordx4 s[24:27], s[4:5], 0x78
	s_load_dwordx8 s[16:23], s[4:5], 0x58
	v_mov_b32_e32 v2, 0
	s_waitcnt lgkmcnt(0)
	s_cmp_eq_u64 s[6:7], 0
	v_mov_b32_e32 v5, 0
	s_cbranch_scc1 .LBB122_3
; %bb.2:
	v_mul_lo_u32 v5, v1, s14
	v_mul_lo_u32 v7, v3, s13
	;; [unrolled: 1-line block ×3, first 2 shown]
	v_mov_b32_e32 v6, 0
	v_mov_b32_e32 v9, s7
	v_add3_u32 v5, v7, v5, v8
	v_lshlrev_b64 v[7:8], 1, v[5:6]
	v_mul_lo_u32 v5, v0, s11
	v_add_co_u32_e32 v7, vcc, s6, v7
	v_addc_co_u32_e32 v8, vcc, v9, v8, vcc
	v_lshlrev_b64 v[5:6], 1, v[5:6]
	v_add_co_u32_e32 v5, vcc, v7, v5
	v_addc_co_u32_e32 v6, vcc, v8, v6, vcc
	global_load_ushort v5, v[5:6], off
	s_waitcnt vmcnt(0)
	v_cvt_f32_f16_e32 v5, v5
.LBB122_3:
	v_mul_hi_u32 v6, s19, v4
	v_mul_hi_u32 v7, s22, v3
	;; [unrolled: 1-line block ×4, first 2 shown]
	v_add_u32_e32 v6, v4, v6
	v_add_u32_e32 v7, v3, v7
	;; [unrolled: 1-line block ×3, first 2 shown]
	v_lshrrev_b32_e32 v6, s20, v6
	v_lshrrev_b32_e32 v7, s23, v7
	;; [unrolled: 1-line block ×3, first 2 shown]
	v_mul_lo_u32 v6, v6, s21
	v_mul_lo_u32 v7, v7, s24
	;; [unrolled: 1-line block ×3, first 2 shown]
	v_add_u32_e32 v9, v0, v9
	v_sub_u32_e32 v6, v4, v6
	v_sub_u32_e32 v7, v3, v7
	;; [unrolled: 1-line block ×3, first 2 shown]
	v_lshrrev_b32_e32 v9, s17, v9
	v_mul_lo_u32 v8, v8, s2
	v_mul_lo_u32 v7, v7, s1
	;; [unrolled: 1-line block ×5, first 2 shown]
	v_add3_u32 v6, v7, v8, v6
	v_sub_u32_e32 v7, v0, v9
	v_mul_lo_u32 v7, v7, s15
	s_load_dwordx2 s[0:1], s[4:5], 0xd8
	s_load_dwordx8 s[12:19], s[4:5], 0xb8
	v_ashrrev_i32_e32 v8, 31, v6
	v_ashrrev_i32_e32 v9, 31, v7
	v_add_co_u32_e32 v6, vcc, v7, v6
	v_addc_co_u32_e32 v7, vcc, v9, v8, vcc
	v_lshlrev_b64 v[6:7], 1, v[6:7]
	s_waitcnt lgkmcnt(0)
	v_mov_b32_e32 v9, s13
	v_add_co_u32_e32 v8, vcc, s12, v6
	v_addc_co_u32_e32 v9, vcc, v9, v7, vcc
	global_load_ushort v10, v[8:9], off
	v_mov_b32_e32 v9, s15
	v_add_co_u32_e32 v8, vcc, s14, v6
	v_addc_co_u32_e32 v9, vcc, v9, v7, vcc
	global_load_ushort v11, v[8:9], off
	;; [unrolled: 4-line block ×5, first 2 shown]
	v_mul_lo_u32 v7, v1, s10
	v_mul_lo_u32 v9, v3, s9
	s_load_dwordx2 s[0:1], s[4:5], 0x10
	v_mov_b32_e32 v1, v2
	v_lshlrev_b64 v[3:4], 1, v[0:1]
	v_add3_u32 v1, v9, v7, v13
	v_lshlrev_b64 v[0:1], 1, v[1:2]
	s_waitcnt lgkmcnt(0)
	v_mov_b32_e32 v2, s1
	v_add_co_u32_e32 v0, vcc, s0, v0
	v_addc_co_u32_e32 v1, vcc, v2, v1, vcc
	v_add_co_u32_e32 v0, vcc, v0, v3
	v_addc_co_u32_e32 v1, vcc, v1, v4, vcc
	s_waitcnt vmcnt(4)
	v_cvt_f32_f16_e32 v2, v10
	v_mul_f32_e32 v2, v5, v2
	s_waitcnt vmcnt(3)
	v_cvt_f32_f16_e32 v7, v11
	v_mul_f32_e32 v2, v2, v7
	;; [unrolled: 3-line block ×4, first 2 shown]
	s_waitcnt vmcnt(0)
	v_fma_mixlo_f16 v2, v2, v6, 0 op_sel_hi:[0,1,0]
	global_store_short v[0:1], v2, off
.LBB122_4:
	s_endpgm
	.section	.rodata,"a",@progbits
	.p2align	6, 0x0
	.amdhsa_kernel _ZL19k_bin_bcast_unravelIXadL_ZL6op_mulffEE6__halfS0_S0_JPKS0_S2_S2_S2_S2_EEvPKT0_PKT1_PT2_15HIP_vector_typeIjLj3EESC_SC_jSC_SC_SC_SC_SC_SC_iiiiiiiiiiiDpT3_
		.amdhsa_group_segment_fixed_size 0
		.amdhsa_private_segment_fixed_size 0
		.amdhsa_kernarg_size 480
		.amdhsa_user_sgpr_count 6
		.amdhsa_user_sgpr_private_segment_buffer 1
		.amdhsa_user_sgpr_dispatch_ptr 0
		.amdhsa_user_sgpr_queue_ptr 0
		.amdhsa_user_sgpr_kernarg_segment_ptr 1
		.amdhsa_user_sgpr_dispatch_id 0
		.amdhsa_user_sgpr_flat_scratch_init 0
		.amdhsa_user_sgpr_private_segment_size 0
		.amdhsa_uses_dynamic_stack 0
		.amdhsa_system_sgpr_private_segment_wavefront_offset 0
		.amdhsa_system_sgpr_workgroup_id_x 1
		.amdhsa_system_sgpr_workgroup_id_y 0
		.amdhsa_system_sgpr_workgroup_id_z 0
		.amdhsa_system_sgpr_workgroup_info 0
		.amdhsa_system_vgpr_workitem_id 0
		.amdhsa_next_free_vgpr 14
		.amdhsa_next_free_sgpr 28
		.amdhsa_reserve_vcc 1
		.amdhsa_reserve_flat_scratch 0
		.amdhsa_float_round_mode_32 0
		.amdhsa_float_round_mode_16_64 0
		.amdhsa_float_denorm_mode_32 3
		.amdhsa_float_denorm_mode_16_64 3
		.amdhsa_dx10_clamp 1
		.amdhsa_ieee_mode 1
		.amdhsa_fp16_overflow 0
		.amdhsa_exception_fp_ieee_invalid_op 0
		.amdhsa_exception_fp_denorm_src 0
		.amdhsa_exception_fp_ieee_div_zero 0
		.amdhsa_exception_fp_ieee_overflow 0
		.amdhsa_exception_fp_ieee_underflow 0
		.amdhsa_exception_fp_ieee_inexact 0
		.amdhsa_exception_int_div_zero 0
	.end_amdhsa_kernel
	.section	.text._ZL19k_bin_bcast_unravelIXadL_ZL6op_mulffEE6__halfS0_S0_JPKS0_S2_S2_S2_S2_EEvPKT0_PKT1_PT2_15HIP_vector_typeIjLj3EESC_SC_jSC_SC_SC_SC_SC_SC_iiiiiiiiiiiDpT3_,"axG",@progbits,_ZL19k_bin_bcast_unravelIXadL_ZL6op_mulffEE6__halfS0_S0_JPKS0_S2_S2_S2_S2_EEvPKT0_PKT1_PT2_15HIP_vector_typeIjLj3EESC_SC_jSC_SC_SC_SC_SC_SC_iiiiiiiiiiiDpT3_,comdat
.Lfunc_end122:
	.size	_ZL19k_bin_bcast_unravelIXadL_ZL6op_mulffEE6__halfS0_S0_JPKS0_S2_S2_S2_S2_EEvPKT0_PKT1_PT2_15HIP_vector_typeIjLj3EESC_SC_jSC_SC_SC_SC_SC_SC_iiiiiiiiiiiDpT3_, .Lfunc_end122-_ZL19k_bin_bcast_unravelIXadL_ZL6op_mulffEE6__halfS0_S0_JPKS0_S2_S2_S2_S2_EEvPKT0_PKT1_PT2_15HIP_vector_typeIjLj3EESC_SC_jSC_SC_SC_SC_SC_SC_iiiiiiiiiiiDpT3_
                                        ; -- End function
	.set _ZL19k_bin_bcast_unravelIXadL_ZL6op_mulffEE6__halfS0_S0_JPKS0_S2_S2_S2_S2_EEvPKT0_PKT1_PT2_15HIP_vector_typeIjLj3EESC_SC_jSC_SC_SC_SC_SC_SC_iiiiiiiiiiiDpT3_.num_vgpr, 14
	.set _ZL19k_bin_bcast_unravelIXadL_ZL6op_mulffEE6__halfS0_S0_JPKS0_S2_S2_S2_S2_EEvPKT0_PKT1_PT2_15HIP_vector_typeIjLj3EESC_SC_jSC_SC_SC_SC_SC_SC_iiiiiiiiiiiDpT3_.num_agpr, 0
	.set _ZL19k_bin_bcast_unravelIXadL_ZL6op_mulffEE6__halfS0_S0_JPKS0_S2_S2_S2_S2_EEvPKT0_PKT1_PT2_15HIP_vector_typeIjLj3EESC_SC_jSC_SC_SC_SC_SC_SC_iiiiiiiiiiiDpT3_.numbered_sgpr, 28
	.set _ZL19k_bin_bcast_unravelIXadL_ZL6op_mulffEE6__halfS0_S0_JPKS0_S2_S2_S2_S2_EEvPKT0_PKT1_PT2_15HIP_vector_typeIjLj3EESC_SC_jSC_SC_SC_SC_SC_SC_iiiiiiiiiiiDpT3_.num_named_barrier, 0
	.set _ZL19k_bin_bcast_unravelIXadL_ZL6op_mulffEE6__halfS0_S0_JPKS0_S2_S2_S2_S2_EEvPKT0_PKT1_PT2_15HIP_vector_typeIjLj3EESC_SC_jSC_SC_SC_SC_SC_SC_iiiiiiiiiiiDpT3_.private_seg_size, 0
	.set _ZL19k_bin_bcast_unravelIXadL_ZL6op_mulffEE6__halfS0_S0_JPKS0_S2_S2_S2_S2_EEvPKT0_PKT1_PT2_15HIP_vector_typeIjLj3EESC_SC_jSC_SC_SC_SC_SC_SC_iiiiiiiiiiiDpT3_.uses_vcc, 1
	.set _ZL19k_bin_bcast_unravelIXadL_ZL6op_mulffEE6__halfS0_S0_JPKS0_S2_S2_S2_S2_EEvPKT0_PKT1_PT2_15HIP_vector_typeIjLj3EESC_SC_jSC_SC_SC_SC_SC_SC_iiiiiiiiiiiDpT3_.uses_flat_scratch, 0
	.set _ZL19k_bin_bcast_unravelIXadL_ZL6op_mulffEE6__halfS0_S0_JPKS0_S2_S2_S2_S2_EEvPKT0_PKT1_PT2_15HIP_vector_typeIjLj3EESC_SC_jSC_SC_SC_SC_SC_SC_iiiiiiiiiiiDpT3_.has_dyn_sized_stack, 0
	.set _ZL19k_bin_bcast_unravelIXadL_ZL6op_mulffEE6__halfS0_S0_JPKS0_S2_S2_S2_S2_EEvPKT0_PKT1_PT2_15HIP_vector_typeIjLj3EESC_SC_jSC_SC_SC_SC_SC_SC_iiiiiiiiiiiDpT3_.has_recursion, 0
	.set _ZL19k_bin_bcast_unravelIXadL_ZL6op_mulffEE6__halfS0_S0_JPKS0_S2_S2_S2_S2_EEvPKT0_PKT1_PT2_15HIP_vector_typeIjLj3EESC_SC_jSC_SC_SC_SC_SC_SC_iiiiiiiiiiiDpT3_.has_indirect_call, 0
	.section	.AMDGPU.csdata,"",@progbits
; Kernel info:
; codeLenInByte = 796
; TotalNumSgprs: 32
; NumVgprs: 14
; ScratchSize: 0
; MemoryBound: 0
; FloatMode: 240
; IeeeMode: 1
; LDSByteSize: 0 bytes/workgroup (compile time only)
; SGPRBlocks: 3
; VGPRBlocks: 3
; NumSGPRsForWavesPerEU: 32
; NumVGPRsForWavesPerEU: 14
; Occupancy: 10
; WaveLimiterHint : 1
; COMPUTE_PGM_RSRC2:SCRATCH_EN: 0
; COMPUTE_PGM_RSRC2:USER_SGPR: 6
; COMPUTE_PGM_RSRC2:TRAP_HANDLER: 0
; COMPUTE_PGM_RSRC2:TGID_X_EN: 1
; COMPUTE_PGM_RSRC2:TGID_Y_EN: 0
; COMPUTE_PGM_RSRC2:TGID_Z_EN: 0
; COMPUTE_PGM_RSRC2:TIDIG_COMP_CNT: 0
	.section	.text._ZL11k_bin_bcastIXadL_ZL6op_mulffEE6__halfS0_S0_JPKS0_S2_S2_S2_S2_EEvPKT0_PKT1_PT2_iii15HIP_vector_typeIjLj3EESC_SC_SC_SC_iiiiiiiiiiiDpT3_,"axG",@progbits,_ZL11k_bin_bcastIXadL_ZL6op_mulffEE6__halfS0_S0_JPKS0_S2_S2_S2_S2_EEvPKT0_PKT1_PT2_iii15HIP_vector_typeIjLj3EESC_SC_SC_SC_iiiiiiiiiiiDpT3_,comdat
	.globl	_ZL11k_bin_bcastIXadL_ZL6op_mulffEE6__halfS0_S0_JPKS0_S2_S2_S2_S2_EEvPKT0_PKT1_PT2_iii15HIP_vector_typeIjLj3EESC_SC_SC_SC_iiiiiiiiiiiDpT3_ ; -- Begin function _ZL11k_bin_bcastIXadL_ZL6op_mulffEE6__halfS0_S0_JPKS0_S2_S2_S2_S2_EEvPKT0_PKT1_PT2_iii15HIP_vector_typeIjLj3EESC_SC_SC_SC_iiiiiiiiiiiDpT3_
	.p2align	8
	.type	_ZL11k_bin_bcastIXadL_ZL6op_mulffEE6__halfS0_S0_JPKS0_S2_S2_S2_S2_EEvPKT0_PKT1_PT2_iii15HIP_vector_typeIjLj3EESC_SC_SC_SC_iiiiiiiiiiiDpT3_,@function
_ZL11k_bin_bcastIXadL_ZL6op_mulffEE6__halfS0_S0_JPKS0_S2_S2_S2_S2_EEvPKT0_PKT1_PT2_iii15HIP_vector_typeIjLj3EESC_SC_SC_SC_iiiiiiiiiiiDpT3_: ; @_ZL11k_bin_bcastIXadL_ZL6op_mulffEE6__halfS0_S0_JPKS0_S2_S2_S2_S2_EEvPKT0_PKT1_PT2_iii15HIP_vector_typeIjLj3EESC_SC_SC_SC_iiiiiiiiiiiDpT3_
; %bb.0:
	s_load_dwordx2 s[0:1], s[4:5], 0xc4
	s_load_dwordx8 s[12:19], s[4:5], 0x18
	s_add_u32 s2, s4, 0xb8
	s_addc_u32 s3, s5, 0
	s_waitcnt lgkmcnt(0)
	s_and_b32 s1, s1, 0xffff
	s_mul_i32 s8, s8, s1
	v_add_u32_e32 v3, s8, v2
	v_mul_hi_u32 v2, v3, s15
	s_lshr_b32 s1, s0, 16
	s_and_b32 s8, s0, 0xffff
	s_mul_i32 s6, s6, s8
	v_add_u32_e32 v2, v3, v2
	v_lshrrev_b32_e32 v2, s16, v2
	v_mul_lo_u32 v4, v2, s17
	s_mul_i32 s7, s7, s1
	v_add_u32_e32 v0, s6, v0
	v_add_u32_e32 v1, s7, v1
	v_cmp_gt_u32_e32 vcc, s12, v0
	v_cmp_gt_u32_e64 s[0:1], s13, v1
	v_sub_u32_e32 v3, v3, v4
	s_and_b64 s[0:1], vcc, s[0:1]
	v_cmp_gt_u32_e32 vcc, s14, v2
	s_and_b64 s[0:1], s[0:1], vcc
	v_cmp_gt_u32_e32 vcc, s17, v3
	s_and_b64 s[0:1], s[0:1], vcc
	s_and_saveexec_b64 s[6:7], s[0:1]
	s_cbranch_execz .LBB123_6
; %bb.1:
	v_cmp_gt_i32_e32 vcc, s12, v0
	s_and_b64 exec, exec, vcc
	s_cbranch_execz .LBB123_6
; %bb.2:
	s_load_dwordx8 s[36:43], s[4:5], 0x3c
	s_load_dwordx8 s[20:27], s[4:5], 0x60
	s_load_dwordx4 s[28:31], s[4:5], 0x80
	s_load_dword s9, s[2:3], 0x0
	s_load_dword s0, s[4:5], 0x5c
	s_waitcnt lgkmcnt(0)
	v_mul_hi_u32 v4, s36, v1
	v_mul_hi_u32 v5, s39, v2
	;; [unrolled: 1-line block ×3, first 2 shown]
	v_mul_lo_u32 v7, v3, s26
	v_add_u32_e32 v4, v1, v4
	v_add_u32_e32 v5, v2, v5
	;; [unrolled: 1-line block ×3, first 2 shown]
	v_lshrrev_b32_e32 v4, s37, v4
	v_lshrrev_b32_e32 v5, s40, v5
	;; [unrolled: 1-line block ×3, first 2 shown]
	v_mul_lo_u32 v4, v4, s38
	v_mul_lo_u32 v5, v5, s41
	;; [unrolled: 1-line block ×5, first 2 shown]
	v_sub_u32_e32 v4, v1, v4
	v_sub_u32_e32 v5, v2, v5
	;; [unrolled: 1-line block ×3, first 2 shown]
	s_load_dword s10, s[4:5], 0x38
	s_load_dwordx2 s[0:1], s[4:5], 0x0
	s_load_dwordx2 s[2:3], s[4:5], 0x10
	v_mul_lo_u32 v6, v6, s30
	v_mul_lo_u32 v5, v5, s29
	;; [unrolled: 1-line block ×6, first 2 shown]
	v_add3_u32 v1, v8, v9, v7
	v_mov_b32_e32 v2, 0
	v_mov_b32_e32 v8, v2
	v_lshlrev_b64 v[1:2], 1, v[1:2]
	v_add3_u32 v4, v5, v6, v4
	v_add3_u32 v7, v10, v11, v3
	s_waitcnt lgkmcnt(0)
	v_mov_b32_e32 v3, s1
	v_add_co_u32_e32 v5, vcc, s0, v1
	v_addc_co_u32_e32 v6, vcc, v3, v2, vcc
	v_lshlrev_b64 v[1:2], 1, v[7:8]
	s_load_dwordx2 s[6:7], s[4:5], 0xb0
	s_load_dwordx8 s[36:43], s[4:5], 0x90
	v_mov_b32_e32 v3, s3
	v_add_co_u32_e32 v7, vcc, s2, v1
	v_addc_co_u32_e32 v8, vcc, v3, v2, vcc
	s_cmp_lg_u64 s[0:1], 0
	v_mul_lo_u32 v2, s23, v0
	s_cselect_b64 s[0:1], -1, 0
	s_mul_i32 s8, s9, s8
	v_cndmask_b32_e64 v1, 0, 1, s[0:1]
	s_mov_b64 s[4:5], 0
	s_mul_i32 s9, s8, s23
	s_sub_i32 s10, 0, s10
	v_cmp_ne_u32_e64 s[0:1], 1, v1
	s_waitcnt lgkmcnt(0)
	v_mov_b32_e32 v9, s37
	v_mov_b32_e32 v10, s39
	;; [unrolled: 1-line block ×5, first 2 shown]
	s_branch .LBB123_4
.LBB123_3:                              ;   in Loop: Header=BB123_4 Depth=1
	v_mul_hi_u32 v1, s18, v0
	v_add_u32_e32 v2, s9, v2
	v_add_u32_e32 v1, v0, v1
	v_lshrrev_b32_e32 v1, s19, v1
	v_mad_u64_u32 v[14:15], s[2:3], s10, v1, v[0:1]
	v_mul_lo_u32 v1, v14, s27
	v_add_co_u32_e32 v14, vcc, v1, v4
	v_addc_co_u32_e64 v15, s[2:3], 0, 0, vcc
	v_lshlrev_b64 v[14:15], 1, v[14:15]
	v_ashrrev_i32_e32 v1, 31, v0
	v_add_co_u32_e32 v16, vcc, s36, v14
	v_addc_co_u32_e32 v17, vcc, v9, v15, vcc
	v_add_co_u32_e32 v18, vcc, s38, v14
	v_addc_co_u32_e32 v19, vcc, v10, v15, vcc
	;; [unrolled: 2-line block ×4, first 2 shown]
	global_load_ushort v24, v[16:17], off
	global_load_ushort v25, v[18:19], off
	;; [unrolled: 1-line block ×4, first 2 shown]
	v_add_co_u32_e32 v14, vcc, s6, v14
	v_addc_co_u32_e32 v15, vcc, v13, v15, vcc
	global_load_ushort v16, v[14:15], off
	v_lshlrev_b64 v[14:15], 1, v[0:1]
	v_add_u32_e32 v0, s8, v0
	v_cmp_le_i32_e32 vcc, s12, v0
	v_add_co_u32_e64 v14, s[2:3], v7, v14
	v_addc_co_u32_e64 v15, s[2:3], v8, v15, s[2:3]
	s_or_b64 s[4:5], vcc, s[4:5]
	s_waitcnt vmcnt(4)
	v_cvt_f32_f16_e32 v1, v24
	s_waitcnt vmcnt(3)
	v_cvt_f32_f16_e32 v17, v25
	s_waitcnt vmcnt(2)
	v_cvt_f32_f16_e32 v18, v26
	s_waitcnt vmcnt(1)
	v_cvt_f32_f16_e32 v19, v27
	v_mul_f32_e32 v1, v3, v1
	v_mul_f32_e32 v1, v1, v17
	;; [unrolled: 1-line block ×4, first 2 shown]
	s_waitcnt vmcnt(0)
	v_fma_mixlo_f16 v1, v1, v16, 0 op_sel_hi:[0,1,0]
	global_store_short v[14:15], v1, off
	s_andn2_b64 exec, exec, s[4:5]
	s_cbranch_execz .LBB123_6
.LBB123_4:                              ; =>This Inner Loop Header: Depth=1
	s_and_b64 vcc, exec, s[0:1]
	v_mov_b32_e32 v3, 0
	s_cbranch_vccnz .LBB123_3
; %bb.5:                                ;   in Loop: Header=BB123_4 Depth=1
	v_ashrrev_i32_e32 v3, 31, v2
	v_lshlrev_b64 v[14:15], 1, v[2:3]
	v_add_co_u32_e32 v14, vcc, v5, v14
	v_addc_co_u32_e32 v15, vcc, v6, v15, vcc
	global_load_ushort v1, v[14:15], off
	s_waitcnt vmcnt(0)
	v_cvt_f32_f16_e32 v3, v1
	s_branch .LBB123_3
.LBB123_6:
	s_endpgm
	.section	.rodata,"a",@progbits
	.p2align	6, 0x0
	.amdhsa_kernel _ZL11k_bin_bcastIXadL_ZL6op_mulffEE6__halfS0_S0_JPKS0_S2_S2_S2_S2_EEvPKT0_PKT1_PT2_iii15HIP_vector_typeIjLj3EESC_SC_SC_SC_iiiiiiiiiiiDpT3_
		.amdhsa_group_segment_fixed_size 0
		.amdhsa_private_segment_fixed_size 0
		.amdhsa_kernarg_size 440
		.amdhsa_user_sgpr_count 6
		.amdhsa_user_sgpr_private_segment_buffer 1
		.amdhsa_user_sgpr_dispatch_ptr 0
		.amdhsa_user_sgpr_queue_ptr 0
		.amdhsa_user_sgpr_kernarg_segment_ptr 1
		.amdhsa_user_sgpr_dispatch_id 0
		.amdhsa_user_sgpr_flat_scratch_init 0
		.amdhsa_user_sgpr_private_segment_size 0
		.amdhsa_uses_dynamic_stack 0
		.amdhsa_system_sgpr_private_segment_wavefront_offset 0
		.amdhsa_system_sgpr_workgroup_id_x 1
		.amdhsa_system_sgpr_workgroup_id_y 1
		.amdhsa_system_sgpr_workgroup_id_z 1
		.amdhsa_system_sgpr_workgroup_info 0
		.amdhsa_system_vgpr_workitem_id 2
		.amdhsa_next_free_vgpr 28
		.amdhsa_next_free_sgpr 44
		.amdhsa_reserve_vcc 1
		.amdhsa_reserve_flat_scratch 0
		.amdhsa_float_round_mode_32 0
		.amdhsa_float_round_mode_16_64 0
		.amdhsa_float_denorm_mode_32 3
		.amdhsa_float_denorm_mode_16_64 3
		.amdhsa_dx10_clamp 1
		.amdhsa_ieee_mode 1
		.amdhsa_fp16_overflow 0
		.amdhsa_exception_fp_ieee_invalid_op 0
		.amdhsa_exception_fp_denorm_src 0
		.amdhsa_exception_fp_ieee_div_zero 0
		.amdhsa_exception_fp_ieee_overflow 0
		.amdhsa_exception_fp_ieee_underflow 0
		.amdhsa_exception_fp_ieee_inexact 0
		.amdhsa_exception_int_div_zero 0
	.end_amdhsa_kernel
	.section	.text._ZL11k_bin_bcastIXadL_ZL6op_mulffEE6__halfS0_S0_JPKS0_S2_S2_S2_S2_EEvPKT0_PKT1_PT2_iii15HIP_vector_typeIjLj3EESC_SC_SC_SC_iiiiiiiiiiiDpT3_,"axG",@progbits,_ZL11k_bin_bcastIXadL_ZL6op_mulffEE6__halfS0_S0_JPKS0_S2_S2_S2_S2_EEvPKT0_PKT1_PT2_iii15HIP_vector_typeIjLj3EESC_SC_SC_SC_iiiiiiiiiiiDpT3_,comdat
.Lfunc_end123:
	.size	_ZL11k_bin_bcastIXadL_ZL6op_mulffEE6__halfS0_S0_JPKS0_S2_S2_S2_S2_EEvPKT0_PKT1_PT2_iii15HIP_vector_typeIjLj3EESC_SC_SC_SC_iiiiiiiiiiiDpT3_, .Lfunc_end123-_ZL11k_bin_bcastIXadL_ZL6op_mulffEE6__halfS0_S0_JPKS0_S2_S2_S2_S2_EEvPKT0_PKT1_PT2_iii15HIP_vector_typeIjLj3EESC_SC_SC_SC_iiiiiiiiiiiDpT3_
                                        ; -- End function
	.set _ZL11k_bin_bcastIXadL_ZL6op_mulffEE6__halfS0_S0_JPKS0_S2_S2_S2_S2_EEvPKT0_PKT1_PT2_iii15HIP_vector_typeIjLj3EESC_SC_SC_SC_iiiiiiiiiiiDpT3_.num_vgpr, 28
	.set _ZL11k_bin_bcastIXadL_ZL6op_mulffEE6__halfS0_S0_JPKS0_S2_S2_S2_S2_EEvPKT0_PKT1_PT2_iii15HIP_vector_typeIjLj3EESC_SC_SC_SC_iiiiiiiiiiiDpT3_.num_agpr, 0
	.set _ZL11k_bin_bcastIXadL_ZL6op_mulffEE6__halfS0_S0_JPKS0_S2_S2_S2_S2_EEvPKT0_PKT1_PT2_iii15HIP_vector_typeIjLj3EESC_SC_SC_SC_iiiiiiiiiiiDpT3_.numbered_sgpr, 44
	.set _ZL11k_bin_bcastIXadL_ZL6op_mulffEE6__halfS0_S0_JPKS0_S2_S2_S2_S2_EEvPKT0_PKT1_PT2_iii15HIP_vector_typeIjLj3EESC_SC_SC_SC_iiiiiiiiiiiDpT3_.num_named_barrier, 0
	.set _ZL11k_bin_bcastIXadL_ZL6op_mulffEE6__halfS0_S0_JPKS0_S2_S2_S2_S2_EEvPKT0_PKT1_PT2_iii15HIP_vector_typeIjLj3EESC_SC_SC_SC_iiiiiiiiiiiDpT3_.private_seg_size, 0
	.set _ZL11k_bin_bcastIXadL_ZL6op_mulffEE6__halfS0_S0_JPKS0_S2_S2_S2_S2_EEvPKT0_PKT1_PT2_iii15HIP_vector_typeIjLj3EESC_SC_SC_SC_iiiiiiiiiiiDpT3_.uses_vcc, 1
	.set _ZL11k_bin_bcastIXadL_ZL6op_mulffEE6__halfS0_S0_JPKS0_S2_S2_S2_S2_EEvPKT0_PKT1_PT2_iii15HIP_vector_typeIjLj3EESC_SC_SC_SC_iiiiiiiiiiiDpT3_.uses_flat_scratch, 0
	.set _ZL11k_bin_bcastIXadL_ZL6op_mulffEE6__halfS0_S0_JPKS0_S2_S2_S2_S2_EEvPKT0_PKT1_PT2_iii15HIP_vector_typeIjLj3EESC_SC_SC_SC_iiiiiiiiiiiDpT3_.has_dyn_sized_stack, 0
	.set _ZL11k_bin_bcastIXadL_ZL6op_mulffEE6__halfS0_S0_JPKS0_S2_S2_S2_S2_EEvPKT0_PKT1_PT2_iii15HIP_vector_typeIjLj3EESC_SC_SC_SC_iiiiiiiiiiiDpT3_.has_recursion, 0
	.set _ZL11k_bin_bcastIXadL_ZL6op_mulffEE6__halfS0_S0_JPKS0_S2_S2_S2_S2_EEvPKT0_PKT1_PT2_iii15HIP_vector_typeIjLj3EESC_SC_SC_SC_iiiiiiiiiiiDpT3_.has_indirect_call, 0
	.section	.AMDGPU.csdata,"",@progbits
; Kernel info:
; codeLenInByte = 856
; TotalNumSgprs: 48
; NumVgprs: 28
; ScratchSize: 0
; MemoryBound: 0
; FloatMode: 240
; IeeeMode: 1
; LDSByteSize: 0 bytes/workgroup (compile time only)
; SGPRBlocks: 5
; VGPRBlocks: 6
; NumSGPRsForWavesPerEU: 48
; NumVGPRsForWavesPerEU: 28
; Occupancy: 9
; WaveLimiterHint : 1
; COMPUTE_PGM_RSRC2:SCRATCH_EN: 0
; COMPUTE_PGM_RSRC2:USER_SGPR: 6
; COMPUTE_PGM_RSRC2:TRAP_HANDLER: 0
; COMPUTE_PGM_RSRC2:TGID_X_EN: 1
; COMPUTE_PGM_RSRC2:TGID_Y_EN: 1
; COMPUTE_PGM_RSRC2:TGID_Z_EN: 1
; COMPUTE_PGM_RSRC2:TIDIG_COMP_CNT: 2
	.section	.text._ZL19k_bin_bcast_unravelIXadL_ZL6op_mulffEE6__halffS0_JPKfS2_S2_S2_S2_EEvPKT0_PKT1_PT2_15HIP_vector_typeIjLj3EESC_SC_jSC_SC_SC_SC_SC_SC_iiiiiiiiiiiDpT3_,"axG",@progbits,_ZL19k_bin_bcast_unravelIXadL_ZL6op_mulffEE6__halffS0_JPKfS2_S2_S2_S2_EEvPKT0_PKT1_PT2_15HIP_vector_typeIjLj3EESC_SC_jSC_SC_SC_SC_SC_SC_iiiiiiiiiiiDpT3_,comdat
	.globl	_ZL19k_bin_bcast_unravelIXadL_ZL6op_mulffEE6__halffS0_JPKfS2_S2_S2_S2_EEvPKT0_PKT1_PT2_15HIP_vector_typeIjLj3EESC_SC_jSC_SC_SC_SC_SC_SC_iiiiiiiiiiiDpT3_ ; -- Begin function _ZL19k_bin_bcast_unravelIXadL_ZL6op_mulffEE6__halffS0_JPKfS2_S2_S2_S2_EEvPKT0_PKT1_PT2_15HIP_vector_typeIjLj3EESC_SC_jSC_SC_SC_SC_SC_SC_iiiiiiiiiiiDpT3_
	.p2align	8
	.type	_ZL19k_bin_bcast_unravelIXadL_ZL6op_mulffEE6__halffS0_JPKfS2_S2_S2_S2_EEvPKT0_PKT1_PT2_15HIP_vector_typeIjLj3EESC_SC_jSC_SC_SC_SC_SC_SC_iiiiiiiiiiiDpT3_,@function
_ZL19k_bin_bcast_unravelIXadL_ZL6op_mulffEE6__halffS0_JPKfS2_S2_S2_S2_EEvPKT0_PKT1_PT2_15HIP_vector_typeIjLj3EESC_SC_jSC_SC_SC_SC_SC_SC_iiiiiiiiiiiDpT3_: ; @_ZL19k_bin_bcast_unravelIXadL_ZL6op_mulffEE6__halffS0_JPKfS2_S2_S2_S2_EEvPKT0_PKT1_PT2_15HIP_vector_typeIjLj3EESC_SC_jSC_SC_SC_SC_SC_SC_iiiiiiiiiiiDpT3_
; %bb.0:
	s_load_dword s0, s[4:5], 0xec
	s_load_dwordx8 s[8:15], s[4:5], 0x38
	s_waitcnt lgkmcnt(0)
	s_and_b32 s0, s0, 0xffff
	s_mul_i32 s6, s6, s0
	v_add_u32_e32 v0, s6, v0
	v_mul_hi_u32 v1, v0, s10
	s_load_dwordx4 s[0:3], s[4:5], 0x18
	s_waitcnt lgkmcnt(0)
	s_load_dword s3, s[4:5], 0x2c
	v_add_u32_e32 v1, v0, v1
	v_lshrrev_b32_e32 v1, s11, v1
	v_mul_lo_u32 v2, v1, s12
	v_sub_u32_e32 v0, v0, v2
	v_mul_hi_u32 v2, v0, s13
	v_add_u32_e32 v2, v0, v2
	v_lshrrev_b32_e32 v3, s14, v2
	v_mul_lo_u32 v2, v3, s15
	v_cmp_gt_u32_e32 vcc, s8, v3
	v_sub_u32_e32 v0, v0, v2
	v_mul_hi_u32 v2, v0, s0
	v_add_u32_e32 v2, v0, v2
	v_lshrrev_b32_e32 v4, s1, v2
	v_mul_lo_u32 v2, v4, s2
	s_waitcnt lgkmcnt(0)
	v_cmp_gt_u32_e64 s[0:1], s3, v4
	v_sub_u32_e32 v0, v0, v2
	v_cmp_gt_u32_e64 s[2:3], s2, v0
	s_and_b64 s[0:1], s[2:3], s[0:1]
	s_and_b64 s[0:1], s[0:1], vcc
	v_cmp_gt_u32_e32 vcc, s9, v1
	s_and_b64 s[0:1], vcc, s[0:1]
	s_and_saveexec_b64 s[2:3], s[0:1]
	s_cbranch_execz .LBB124_4
; %bb.1:
	s_load_dwordx2 s[6:7], s[4:5], 0x0
	s_load_dwordx4 s[0:3], s[4:5], 0xa8
	s_load_dwordx8 s[8:15], s[4:5], 0x88
	s_load_dwordx4 s[24:27], s[4:5], 0x78
	s_load_dwordx8 s[16:23], s[4:5], 0x58
	v_mov_b32_e32 v2, 0
	s_waitcnt lgkmcnt(0)
	s_cmp_eq_u64 s[6:7], 0
	v_mov_b32_e32 v5, 0
	s_cbranch_scc1 .LBB124_3
; %bb.2:
	v_mul_lo_u32 v5, v1, s14
	v_mul_lo_u32 v7, v3, s13
	;; [unrolled: 1-line block ×3, first 2 shown]
	v_mov_b32_e32 v6, 0
	v_mov_b32_e32 v9, s7
	v_add3_u32 v5, v7, v5, v8
	v_lshlrev_b64 v[7:8], 1, v[5:6]
	v_mul_lo_u32 v5, v0, s11
	v_add_co_u32_e32 v7, vcc, s6, v7
	v_addc_co_u32_e32 v8, vcc, v9, v8, vcc
	v_lshlrev_b64 v[5:6], 1, v[5:6]
	v_add_co_u32_e32 v5, vcc, v7, v5
	v_addc_co_u32_e32 v6, vcc, v8, v6, vcc
	global_load_ushort v5, v[5:6], off
	s_waitcnt vmcnt(0)
	v_cvt_f32_f16_e32 v5, v5
.LBB124_3:
	v_mul_hi_u32 v6, s19, v4
	v_mul_hi_u32 v7, s22, v3
	;; [unrolled: 1-line block ×4, first 2 shown]
	v_add_u32_e32 v6, v4, v6
	v_add_u32_e32 v7, v3, v7
	;; [unrolled: 1-line block ×3, first 2 shown]
	v_lshrrev_b32_e32 v6, s20, v6
	v_lshrrev_b32_e32 v7, s23, v7
	;; [unrolled: 1-line block ×3, first 2 shown]
	v_mul_lo_u32 v6, v6, s21
	v_mul_lo_u32 v7, v7, s24
	;; [unrolled: 1-line block ×3, first 2 shown]
	v_add_u32_e32 v9, v0, v9
	v_sub_u32_e32 v6, v4, v6
	v_sub_u32_e32 v7, v3, v7
	;; [unrolled: 1-line block ×3, first 2 shown]
	v_lshrrev_b32_e32 v9, s17, v9
	v_mul_lo_u32 v8, v8, s2
	v_mul_lo_u32 v7, v7, s1
	;; [unrolled: 1-line block ×5, first 2 shown]
	v_add3_u32 v6, v7, v8, v6
	v_sub_u32_e32 v7, v0, v9
	v_mul_lo_u32 v7, v7, s15
	s_load_dwordx2 s[0:1], s[4:5], 0xd8
	s_load_dwordx8 s[12:19], s[4:5], 0xb8
	v_ashrrev_i32_e32 v8, 31, v6
	v_ashrrev_i32_e32 v9, 31, v7
	v_add_co_u32_e32 v6, vcc, v7, v6
	v_addc_co_u32_e32 v7, vcc, v9, v8, vcc
	v_lshlrev_b64 v[6:7], 2, v[6:7]
	s_waitcnt lgkmcnt(0)
	v_mov_b32_e32 v9, s13
	v_add_co_u32_e32 v8, vcc, s12, v6
	v_addc_co_u32_e32 v9, vcc, v9, v7, vcc
	global_load_dword v10, v[8:9], off
	v_mov_b32_e32 v9, s15
	v_add_co_u32_e32 v8, vcc, s14, v6
	v_addc_co_u32_e32 v9, vcc, v9, v7, vcc
	global_load_dword v11, v[8:9], off
	;; [unrolled: 4-line block ×5, first 2 shown]
	v_mul_lo_u32 v7, v1, s10
	v_mul_lo_u32 v9, v3, s9
	s_load_dwordx2 s[0:1], s[4:5], 0x10
	v_mov_b32_e32 v1, v2
	v_lshlrev_b64 v[3:4], 1, v[0:1]
	v_add3_u32 v1, v9, v7, v13
	v_lshlrev_b64 v[0:1], 1, v[1:2]
	s_waitcnt lgkmcnt(0)
	v_mov_b32_e32 v2, s1
	v_add_co_u32_e32 v0, vcc, s0, v0
	v_addc_co_u32_e32 v1, vcc, v2, v1, vcc
	v_add_co_u32_e32 v0, vcc, v0, v3
	v_addc_co_u32_e32 v1, vcc, v1, v4, vcc
	s_waitcnt vmcnt(4)
	v_mul_f32_e32 v2, v5, v10
	s_waitcnt vmcnt(3)
	v_mul_f32_e32 v2, v2, v11
	;; [unrolled: 2-line block ×4, first 2 shown]
	s_waitcnt vmcnt(0)
	v_fma_mixlo_f16 v2, v2, v6, 0
	global_store_short v[0:1], v2, off
.LBB124_4:
	s_endpgm
	.section	.rodata,"a",@progbits
	.p2align	6, 0x0
	.amdhsa_kernel _ZL19k_bin_bcast_unravelIXadL_ZL6op_mulffEE6__halffS0_JPKfS2_S2_S2_S2_EEvPKT0_PKT1_PT2_15HIP_vector_typeIjLj3EESC_SC_jSC_SC_SC_SC_SC_SC_iiiiiiiiiiiDpT3_
		.amdhsa_group_segment_fixed_size 0
		.amdhsa_private_segment_fixed_size 0
		.amdhsa_kernarg_size 480
		.amdhsa_user_sgpr_count 6
		.amdhsa_user_sgpr_private_segment_buffer 1
		.amdhsa_user_sgpr_dispatch_ptr 0
		.amdhsa_user_sgpr_queue_ptr 0
		.amdhsa_user_sgpr_kernarg_segment_ptr 1
		.amdhsa_user_sgpr_dispatch_id 0
		.amdhsa_user_sgpr_flat_scratch_init 0
		.amdhsa_user_sgpr_private_segment_size 0
		.amdhsa_uses_dynamic_stack 0
		.amdhsa_system_sgpr_private_segment_wavefront_offset 0
		.amdhsa_system_sgpr_workgroup_id_x 1
		.amdhsa_system_sgpr_workgroup_id_y 0
		.amdhsa_system_sgpr_workgroup_id_z 0
		.amdhsa_system_sgpr_workgroup_info 0
		.amdhsa_system_vgpr_workitem_id 0
		.amdhsa_next_free_vgpr 14
		.amdhsa_next_free_sgpr 28
		.amdhsa_reserve_vcc 1
		.amdhsa_reserve_flat_scratch 0
		.amdhsa_float_round_mode_32 0
		.amdhsa_float_round_mode_16_64 0
		.amdhsa_float_denorm_mode_32 3
		.amdhsa_float_denorm_mode_16_64 3
		.amdhsa_dx10_clamp 1
		.amdhsa_ieee_mode 1
		.amdhsa_fp16_overflow 0
		.amdhsa_exception_fp_ieee_invalid_op 0
		.amdhsa_exception_fp_denorm_src 0
		.amdhsa_exception_fp_ieee_div_zero 0
		.amdhsa_exception_fp_ieee_overflow 0
		.amdhsa_exception_fp_ieee_underflow 0
		.amdhsa_exception_fp_ieee_inexact 0
		.amdhsa_exception_int_div_zero 0
	.end_amdhsa_kernel
	.section	.text._ZL19k_bin_bcast_unravelIXadL_ZL6op_mulffEE6__halffS0_JPKfS2_S2_S2_S2_EEvPKT0_PKT1_PT2_15HIP_vector_typeIjLj3EESC_SC_jSC_SC_SC_SC_SC_SC_iiiiiiiiiiiDpT3_,"axG",@progbits,_ZL19k_bin_bcast_unravelIXadL_ZL6op_mulffEE6__halffS0_JPKfS2_S2_S2_S2_EEvPKT0_PKT1_PT2_15HIP_vector_typeIjLj3EESC_SC_jSC_SC_SC_SC_SC_SC_iiiiiiiiiiiDpT3_,comdat
.Lfunc_end124:
	.size	_ZL19k_bin_bcast_unravelIXadL_ZL6op_mulffEE6__halffS0_JPKfS2_S2_S2_S2_EEvPKT0_PKT1_PT2_15HIP_vector_typeIjLj3EESC_SC_jSC_SC_SC_SC_SC_SC_iiiiiiiiiiiDpT3_, .Lfunc_end124-_ZL19k_bin_bcast_unravelIXadL_ZL6op_mulffEE6__halffS0_JPKfS2_S2_S2_S2_EEvPKT0_PKT1_PT2_15HIP_vector_typeIjLj3EESC_SC_jSC_SC_SC_SC_SC_SC_iiiiiiiiiiiDpT3_
                                        ; -- End function
	.set _ZL19k_bin_bcast_unravelIXadL_ZL6op_mulffEE6__halffS0_JPKfS2_S2_S2_S2_EEvPKT0_PKT1_PT2_15HIP_vector_typeIjLj3EESC_SC_jSC_SC_SC_SC_SC_SC_iiiiiiiiiiiDpT3_.num_vgpr, 14
	.set _ZL19k_bin_bcast_unravelIXadL_ZL6op_mulffEE6__halffS0_JPKfS2_S2_S2_S2_EEvPKT0_PKT1_PT2_15HIP_vector_typeIjLj3EESC_SC_jSC_SC_SC_SC_SC_SC_iiiiiiiiiiiDpT3_.num_agpr, 0
	.set _ZL19k_bin_bcast_unravelIXadL_ZL6op_mulffEE6__halffS0_JPKfS2_S2_S2_S2_EEvPKT0_PKT1_PT2_15HIP_vector_typeIjLj3EESC_SC_jSC_SC_SC_SC_SC_SC_iiiiiiiiiiiDpT3_.numbered_sgpr, 28
	.set _ZL19k_bin_bcast_unravelIXadL_ZL6op_mulffEE6__halffS0_JPKfS2_S2_S2_S2_EEvPKT0_PKT1_PT2_15HIP_vector_typeIjLj3EESC_SC_jSC_SC_SC_SC_SC_SC_iiiiiiiiiiiDpT3_.num_named_barrier, 0
	.set _ZL19k_bin_bcast_unravelIXadL_ZL6op_mulffEE6__halffS0_JPKfS2_S2_S2_S2_EEvPKT0_PKT1_PT2_15HIP_vector_typeIjLj3EESC_SC_jSC_SC_SC_SC_SC_SC_iiiiiiiiiiiDpT3_.private_seg_size, 0
	.set _ZL19k_bin_bcast_unravelIXadL_ZL6op_mulffEE6__halffS0_JPKfS2_S2_S2_S2_EEvPKT0_PKT1_PT2_15HIP_vector_typeIjLj3EESC_SC_jSC_SC_SC_SC_SC_SC_iiiiiiiiiiiDpT3_.uses_vcc, 1
	.set _ZL19k_bin_bcast_unravelIXadL_ZL6op_mulffEE6__halffS0_JPKfS2_S2_S2_S2_EEvPKT0_PKT1_PT2_15HIP_vector_typeIjLj3EESC_SC_jSC_SC_SC_SC_SC_SC_iiiiiiiiiiiDpT3_.uses_flat_scratch, 0
	.set _ZL19k_bin_bcast_unravelIXadL_ZL6op_mulffEE6__halffS0_JPKfS2_S2_S2_S2_EEvPKT0_PKT1_PT2_15HIP_vector_typeIjLj3EESC_SC_jSC_SC_SC_SC_SC_SC_iiiiiiiiiiiDpT3_.has_dyn_sized_stack, 0
	.set _ZL19k_bin_bcast_unravelIXadL_ZL6op_mulffEE6__halffS0_JPKfS2_S2_S2_S2_EEvPKT0_PKT1_PT2_15HIP_vector_typeIjLj3EESC_SC_jSC_SC_SC_SC_SC_SC_iiiiiiiiiiiDpT3_.has_recursion, 0
	.set _ZL19k_bin_bcast_unravelIXadL_ZL6op_mulffEE6__halffS0_JPKfS2_S2_S2_S2_EEvPKT0_PKT1_PT2_15HIP_vector_typeIjLj3EESC_SC_jSC_SC_SC_SC_SC_SC_iiiiiiiiiiiDpT3_.has_indirect_call, 0
	.section	.AMDGPU.csdata,"",@progbits
; Kernel info:
; codeLenInByte = 780
; TotalNumSgprs: 32
; NumVgprs: 14
; ScratchSize: 0
; MemoryBound: 0
; FloatMode: 240
; IeeeMode: 1
; LDSByteSize: 0 bytes/workgroup (compile time only)
; SGPRBlocks: 3
; VGPRBlocks: 3
; NumSGPRsForWavesPerEU: 32
; NumVGPRsForWavesPerEU: 14
; Occupancy: 10
; WaveLimiterHint : 1
; COMPUTE_PGM_RSRC2:SCRATCH_EN: 0
; COMPUTE_PGM_RSRC2:USER_SGPR: 6
; COMPUTE_PGM_RSRC2:TRAP_HANDLER: 0
; COMPUTE_PGM_RSRC2:TGID_X_EN: 1
; COMPUTE_PGM_RSRC2:TGID_Y_EN: 0
; COMPUTE_PGM_RSRC2:TGID_Z_EN: 0
; COMPUTE_PGM_RSRC2:TIDIG_COMP_CNT: 0
	.section	.text._ZL11k_bin_bcastIXadL_ZL6op_mulffEE6__halffS0_JPKfS2_S2_S2_S2_EEvPKT0_PKT1_PT2_iii15HIP_vector_typeIjLj3EESC_SC_SC_SC_iiiiiiiiiiiDpT3_,"axG",@progbits,_ZL11k_bin_bcastIXadL_ZL6op_mulffEE6__halffS0_JPKfS2_S2_S2_S2_EEvPKT0_PKT1_PT2_iii15HIP_vector_typeIjLj3EESC_SC_SC_SC_iiiiiiiiiiiDpT3_,comdat
	.globl	_ZL11k_bin_bcastIXadL_ZL6op_mulffEE6__halffS0_JPKfS2_S2_S2_S2_EEvPKT0_PKT1_PT2_iii15HIP_vector_typeIjLj3EESC_SC_SC_SC_iiiiiiiiiiiDpT3_ ; -- Begin function _ZL11k_bin_bcastIXadL_ZL6op_mulffEE6__halffS0_JPKfS2_S2_S2_S2_EEvPKT0_PKT1_PT2_iii15HIP_vector_typeIjLj3EESC_SC_SC_SC_iiiiiiiiiiiDpT3_
	.p2align	8
	.type	_ZL11k_bin_bcastIXadL_ZL6op_mulffEE6__halffS0_JPKfS2_S2_S2_S2_EEvPKT0_PKT1_PT2_iii15HIP_vector_typeIjLj3EESC_SC_SC_SC_iiiiiiiiiiiDpT3_,@function
_ZL11k_bin_bcastIXadL_ZL6op_mulffEE6__halffS0_JPKfS2_S2_S2_S2_EEvPKT0_PKT1_PT2_iii15HIP_vector_typeIjLj3EESC_SC_SC_SC_iiiiiiiiiiiDpT3_: ; @_ZL11k_bin_bcastIXadL_ZL6op_mulffEE6__halffS0_JPKfS2_S2_S2_S2_EEvPKT0_PKT1_PT2_iii15HIP_vector_typeIjLj3EESC_SC_SC_SC_iiiiiiiiiiiDpT3_
; %bb.0:
	s_load_dwordx2 s[0:1], s[4:5], 0xc4
	s_load_dwordx8 s[12:19], s[4:5], 0x18
	s_add_u32 s2, s4, 0xb8
	s_addc_u32 s3, s5, 0
	s_waitcnt lgkmcnt(0)
	s_and_b32 s1, s1, 0xffff
	s_mul_i32 s8, s8, s1
	v_add_u32_e32 v3, s8, v2
	v_mul_hi_u32 v2, v3, s15
	s_lshr_b32 s1, s0, 16
	s_and_b32 s8, s0, 0xffff
	s_mul_i32 s6, s6, s8
	v_add_u32_e32 v2, v3, v2
	v_lshrrev_b32_e32 v2, s16, v2
	v_mul_lo_u32 v4, v2, s17
	s_mul_i32 s7, s7, s1
	v_add_u32_e32 v0, s6, v0
	v_add_u32_e32 v1, s7, v1
	v_cmp_gt_u32_e32 vcc, s12, v0
	v_cmp_gt_u32_e64 s[0:1], s13, v1
	v_sub_u32_e32 v3, v3, v4
	s_and_b64 s[0:1], vcc, s[0:1]
	v_cmp_gt_u32_e32 vcc, s14, v2
	s_and_b64 s[0:1], s[0:1], vcc
	v_cmp_gt_u32_e32 vcc, s17, v3
	s_and_b64 s[0:1], s[0:1], vcc
	s_and_saveexec_b64 s[6:7], s[0:1]
	s_cbranch_execz .LBB125_6
; %bb.1:
	v_cmp_gt_i32_e32 vcc, s12, v0
	s_and_b64 exec, exec, vcc
	s_cbranch_execz .LBB125_6
; %bb.2:
	s_load_dwordx8 s[36:43], s[4:5], 0x3c
	s_load_dwordx8 s[20:27], s[4:5], 0x60
	s_load_dwordx4 s[28:31], s[4:5], 0x80
	s_load_dword s9, s[2:3], 0x0
	s_load_dword s0, s[4:5], 0x5c
	s_waitcnt lgkmcnt(0)
	v_mul_hi_u32 v4, s36, v1
	v_mul_hi_u32 v5, s39, v2
	;; [unrolled: 1-line block ×3, first 2 shown]
	v_mul_lo_u32 v7, v3, s26
	v_add_u32_e32 v4, v1, v4
	v_add_u32_e32 v5, v2, v5
	;; [unrolled: 1-line block ×3, first 2 shown]
	v_lshrrev_b32_e32 v4, s37, v4
	v_lshrrev_b32_e32 v5, s40, v5
	;; [unrolled: 1-line block ×3, first 2 shown]
	v_mul_lo_u32 v4, v4, s38
	v_mul_lo_u32 v5, v5, s41
	;; [unrolled: 1-line block ×5, first 2 shown]
	v_sub_u32_e32 v4, v1, v4
	v_sub_u32_e32 v5, v2, v5
	v_sub_u32_e32 v6, v3, v6
	s_load_dword s10, s[4:5], 0x38
	s_load_dwordx2 s[0:1], s[4:5], 0x0
	s_load_dwordx2 s[2:3], s[4:5], 0x10
	v_mul_lo_u32 v6, v6, s30
	v_mul_lo_u32 v5, v5, s29
	;; [unrolled: 1-line block ×6, first 2 shown]
	v_add3_u32 v1, v8, v9, v7
	v_mov_b32_e32 v2, 0
	v_mov_b32_e32 v8, v2
	v_lshlrev_b64 v[1:2], 1, v[1:2]
	v_add3_u32 v4, v5, v6, v4
	v_add3_u32 v7, v10, v11, v3
	s_waitcnt lgkmcnt(0)
	v_mov_b32_e32 v3, s1
	v_add_co_u32_e32 v5, vcc, s0, v1
	v_addc_co_u32_e32 v6, vcc, v3, v2, vcc
	v_lshlrev_b64 v[1:2], 1, v[7:8]
	s_load_dwordx2 s[6:7], s[4:5], 0xb0
	s_load_dwordx8 s[36:43], s[4:5], 0x90
	v_mov_b32_e32 v3, s3
	v_add_co_u32_e32 v7, vcc, s2, v1
	v_addc_co_u32_e32 v8, vcc, v3, v2, vcc
	s_cmp_lg_u64 s[0:1], 0
	v_mul_lo_u32 v2, s23, v0
	s_cselect_b64 s[0:1], -1, 0
	s_mul_i32 s8, s9, s8
	v_cndmask_b32_e64 v1, 0, 1, s[0:1]
	s_mov_b64 s[4:5], 0
	s_mul_i32 s9, s8, s23
	s_sub_i32 s10, 0, s10
	v_cmp_ne_u32_e64 s[0:1], 1, v1
	s_waitcnt lgkmcnt(0)
	v_mov_b32_e32 v9, s37
	v_mov_b32_e32 v10, s39
	;; [unrolled: 1-line block ×5, first 2 shown]
	s_branch .LBB125_4
.LBB125_3:                              ;   in Loop: Header=BB125_4 Depth=1
	v_mul_hi_u32 v1, s18, v0
	v_add_u32_e32 v2, s9, v2
	v_add_u32_e32 v1, v0, v1
	v_lshrrev_b32_e32 v1, s19, v1
	v_mad_u64_u32 v[14:15], s[2:3], s10, v1, v[0:1]
	v_mul_lo_u32 v1, v14, s27
	v_add_co_u32_e32 v14, vcc, v1, v4
	v_addc_co_u32_e64 v15, s[2:3], 0, 0, vcc
	v_lshlrev_b64 v[14:15], 2, v[14:15]
	v_ashrrev_i32_e32 v1, 31, v0
	v_add_co_u32_e32 v16, vcc, s36, v14
	v_addc_co_u32_e32 v17, vcc, v9, v15, vcc
	v_add_co_u32_e32 v18, vcc, s38, v14
	v_addc_co_u32_e32 v19, vcc, v10, v15, vcc
	;; [unrolled: 2-line block ×5, first 2 shown]
	global_load_dword v24, v[16:17], off
	global_load_dword v25, v[18:19], off
	;; [unrolled: 1-line block ×5, first 2 shown]
	v_lshlrev_b64 v[14:15], 1, v[0:1]
	v_add_u32_e32 v0, s8, v0
	v_cmp_le_i32_e32 vcc, s12, v0
	v_add_co_u32_e64 v14, s[2:3], v7, v14
	v_addc_co_u32_e64 v15, s[2:3], v8, v15, s[2:3]
	s_or_b64 s[4:5], vcc, s[4:5]
	s_waitcnt vmcnt(4)
	v_mul_f32_e32 v1, v3, v24
	s_waitcnt vmcnt(3)
	v_mul_f32_e32 v1, v1, v25
	;; [unrolled: 2-line block ×4, first 2 shown]
	s_waitcnt vmcnt(0)
	v_fma_mixlo_f16 v1, v1, v28, 0
	global_store_short v[14:15], v1, off
	s_andn2_b64 exec, exec, s[4:5]
	s_cbranch_execz .LBB125_6
.LBB125_4:                              ; =>This Inner Loop Header: Depth=1
	s_and_b64 vcc, exec, s[0:1]
	v_mov_b32_e32 v3, 0
	s_cbranch_vccnz .LBB125_3
; %bb.5:                                ;   in Loop: Header=BB125_4 Depth=1
	v_ashrrev_i32_e32 v3, 31, v2
	v_lshlrev_b64 v[14:15], 1, v[2:3]
	v_add_co_u32_e32 v14, vcc, v5, v14
	v_addc_co_u32_e32 v15, vcc, v6, v15, vcc
	global_load_ushort v1, v[14:15], off
	s_waitcnt vmcnt(0)
	v_cvt_f32_f16_e32 v3, v1
	s_branch .LBB125_3
.LBB125_6:
	s_endpgm
	.section	.rodata,"a",@progbits
	.p2align	6, 0x0
	.amdhsa_kernel _ZL11k_bin_bcastIXadL_ZL6op_mulffEE6__halffS0_JPKfS2_S2_S2_S2_EEvPKT0_PKT1_PT2_iii15HIP_vector_typeIjLj3EESC_SC_SC_SC_iiiiiiiiiiiDpT3_
		.amdhsa_group_segment_fixed_size 0
		.amdhsa_private_segment_fixed_size 0
		.amdhsa_kernarg_size 440
		.amdhsa_user_sgpr_count 6
		.amdhsa_user_sgpr_private_segment_buffer 1
		.amdhsa_user_sgpr_dispatch_ptr 0
		.amdhsa_user_sgpr_queue_ptr 0
		.amdhsa_user_sgpr_kernarg_segment_ptr 1
		.amdhsa_user_sgpr_dispatch_id 0
		.amdhsa_user_sgpr_flat_scratch_init 0
		.amdhsa_user_sgpr_private_segment_size 0
		.amdhsa_uses_dynamic_stack 0
		.amdhsa_system_sgpr_private_segment_wavefront_offset 0
		.amdhsa_system_sgpr_workgroup_id_x 1
		.amdhsa_system_sgpr_workgroup_id_y 1
		.amdhsa_system_sgpr_workgroup_id_z 1
		.amdhsa_system_sgpr_workgroup_info 0
		.amdhsa_system_vgpr_workitem_id 2
		.amdhsa_next_free_vgpr 29
		.amdhsa_next_free_sgpr 44
		.amdhsa_reserve_vcc 1
		.amdhsa_reserve_flat_scratch 0
		.amdhsa_float_round_mode_32 0
		.amdhsa_float_round_mode_16_64 0
		.amdhsa_float_denorm_mode_32 3
		.amdhsa_float_denorm_mode_16_64 3
		.amdhsa_dx10_clamp 1
		.amdhsa_ieee_mode 1
		.amdhsa_fp16_overflow 0
		.amdhsa_exception_fp_ieee_invalid_op 0
		.amdhsa_exception_fp_denorm_src 0
		.amdhsa_exception_fp_ieee_div_zero 0
		.amdhsa_exception_fp_ieee_overflow 0
		.amdhsa_exception_fp_ieee_underflow 0
		.amdhsa_exception_fp_ieee_inexact 0
		.amdhsa_exception_int_div_zero 0
	.end_amdhsa_kernel
	.section	.text._ZL11k_bin_bcastIXadL_ZL6op_mulffEE6__halffS0_JPKfS2_S2_S2_S2_EEvPKT0_PKT1_PT2_iii15HIP_vector_typeIjLj3EESC_SC_SC_SC_iiiiiiiiiiiDpT3_,"axG",@progbits,_ZL11k_bin_bcastIXadL_ZL6op_mulffEE6__halffS0_JPKfS2_S2_S2_S2_EEvPKT0_PKT1_PT2_iii15HIP_vector_typeIjLj3EESC_SC_SC_SC_iiiiiiiiiiiDpT3_,comdat
.Lfunc_end125:
	.size	_ZL11k_bin_bcastIXadL_ZL6op_mulffEE6__halffS0_JPKfS2_S2_S2_S2_EEvPKT0_PKT1_PT2_iii15HIP_vector_typeIjLj3EESC_SC_SC_SC_iiiiiiiiiiiDpT3_, .Lfunc_end125-_ZL11k_bin_bcastIXadL_ZL6op_mulffEE6__halffS0_JPKfS2_S2_S2_S2_EEvPKT0_PKT1_PT2_iii15HIP_vector_typeIjLj3EESC_SC_SC_SC_iiiiiiiiiiiDpT3_
                                        ; -- End function
	.set _ZL11k_bin_bcastIXadL_ZL6op_mulffEE6__halffS0_JPKfS2_S2_S2_S2_EEvPKT0_PKT1_PT2_iii15HIP_vector_typeIjLj3EESC_SC_SC_SC_iiiiiiiiiiiDpT3_.num_vgpr, 29
	.set _ZL11k_bin_bcastIXadL_ZL6op_mulffEE6__halffS0_JPKfS2_S2_S2_S2_EEvPKT0_PKT1_PT2_iii15HIP_vector_typeIjLj3EESC_SC_SC_SC_iiiiiiiiiiiDpT3_.num_agpr, 0
	.set _ZL11k_bin_bcastIXadL_ZL6op_mulffEE6__halffS0_JPKfS2_S2_S2_S2_EEvPKT0_PKT1_PT2_iii15HIP_vector_typeIjLj3EESC_SC_SC_SC_iiiiiiiiiiiDpT3_.numbered_sgpr, 44
	.set _ZL11k_bin_bcastIXadL_ZL6op_mulffEE6__halffS0_JPKfS2_S2_S2_S2_EEvPKT0_PKT1_PT2_iii15HIP_vector_typeIjLj3EESC_SC_SC_SC_iiiiiiiiiiiDpT3_.num_named_barrier, 0
	.set _ZL11k_bin_bcastIXadL_ZL6op_mulffEE6__halffS0_JPKfS2_S2_S2_S2_EEvPKT0_PKT1_PT2_iii15HIP_vector_typeIjLj3EESC_SC_SC_SC_iiiiiiiiiiiDpT3_.private_seg_size, 0
	.set _ZL11k_bin_bcastIXadL_ZL6op_mulffEE6__halffS0_JPKfS2_S2_S2_S2_EEvPKT0_PKT1_PT2_iii15HIP_vector_typeIjLj3EESC_SC_SC_SC_iiiiiiiiiiiDpT3_.uses_vcc, 1
	.set _ZL11k_bin_bcastIXadL_ZL6op_mulffEE6__halffS0_JPKfS2_S2_S2_S2_EEvPKT0_PKT1_PT2_iii15HIP_vector_typeIjLj3EESC_SC_SC_SC_iiiiiiiiiiiDpT3_.uses_flat_scratch, 0
	.set _ZL11k_bin_bcastIXadL_ZL6op_mulffEE6__halffS0_JPKfS2_S2_S2_S2_EEvPKT0_PKT1_PT2_iii15HIP_vector_typeIjLj3EESC_SC_SC_SC_iiiiiiiiiiiDpT3_.has_dyn_sized_stack, 0
	.set _ZL11k_bin_bcastIXadL_ZL6op_mulffEE6__halffS0_JPKfS2_S2_S2_S2_EEvPKT0_PKT1_PT2_iii15HIP_vector_typeIjLj3EESC_SC_SC_SC_iiiiiiiiiiiDpT3_.has_recursion, 0
	.set _ZL11k_bin_bcastIXadL_ZL6op_mulffEE6__halffS0_JPKfS2_S2_S2_S2_EEvPKT0_PKT1_PT2_iii15HIP_vector_typeIjLj3EESC_SC_SC_SC_iiiiiiiiiiiDpT3_.has_indirect_call, 0
	.section	.AMDGPU.csdata,"",@progbits
; Kernel info:
; codeLenInByte = 840
; TotalNumSgprs: 48
; NumVgprs: 29
; ScratchSize: 0
; MemoryBound: 0
; FloatMode: 240
; IeeeMode: 1
; LDSByteSize: 0 bytes/workgroup (compile time only)
; SGPRBlocks: 5
; VGPRBlocks: 7
; NumSGPRsForWavesPerEU: 48
; NumVGPRsForWavesPerEU: 29
; Occupancy: 8
; WaveLimiterHint : 1
; COMPUTE_PGM_RSRC2:SCRATCH_EN: 0
; COMPUTE_PGM_RSRC2:USER_SGPR: 6
; COMPUTE_PGM_RSRC2:TRAP_HANDLER: 0
; COMPUTE_PGM_RSRC2:TGID_X_EN: 1
; COMPUTE_PGM_RSRC2:TGID_Y_EN: 1
; COMPUTE_PGM_RSRC2:TGID_Z_EN: 1
; COMPUTE_PGM_RSRC2:TIDIG_COMP_CNT: 2
	.section	.text._ZL19k_bin_bcast_unravelIXadL_ZL6op_mulffEE6__halfffJPKfS2_S2_S2_S2_EEvPKT0_PKT1_PT2_15HIP_vector_typeIjLj3EESC_SC_jSC_SC_SC_SC_SC_SC_iiiiiiiiiiiDpT3_,"axG",@progbits,_ZL19k_bin_bcast_unravelIXadL_ZL6op_mulffEE6__halfffJPKfS2_S2_S2_S2_EEvPKT0_PKT1_PT2_15HIP_vector_typeIjLj3EESC_SC_jSC_SC_SC_SC_SC_SC_iiiiiiiiiiiDpT3_,comdat
	.globl	_ZL19k_bin_bcast_unravelIXadL_ZL6op_mulffEE6__halfffJPKfS2_S2_S2_S2_EEvPKT0_PKT1_PT2_15HIP_vector_typeIjLj3EESC_SC_jSC_SC_SC_SC_SC_SC_iiiiiiiiiiiDpT3_ ; -- Begin function _ZL19k_bin_bcast_unravelIXadL_ZL6op_mulffEE6__halfffJPKfS2_S2_S2_S2_EEvPKT0_PKT1_PT2_15HIP_vector_typeIjLj3EESC_SC_jSC_SC_SC_SC_SC_SC_iiiiiiiiiiiDpT3_
	.p2align	8
	.type	_ZL19k_bin_bcast_unravelIXadL_ZL6op_mulffEE6__halfffJPKfS2_S2_S2_S2_EEvPKT0_PKT1_PT2_15HIP_vector_typeIjLj3EESC_SC_jSC_SC_SC_SC_SC_SC_iiiiiiiiiiiDpT3_,@function
_ZL19k_bin_bcast_unravelIXadL_ZL6op_mulffEE6__halfffJPKfS2_S2_S2_S2_EEvPKT0_PKT1_PT2_15HIP_vector_typeIjLj3EESC_SC_jSC_SC_SC_SC_SC_SC_iiiiiiiiiiiDpT3_: ; @_ZL19k_bin_bcast_unravelIXadL_ZL6op_mulffEE6__halfffJPKfS2_S2_S2_S2_EEvPKT0_PKT1_PT2_15HIP_vector_typeIjLj3EESC_SC_jSC_SC_SC_SC_SC_SC_iiiiiiiiiiiDpT3_
; %bb.0:
	s_load_dword s0, s[4:5], 0xec
	s_load_dwordx8 s[8:15], s[4:5], 0x38
	s_waitcnt lgkmcnt(0)
	s_and_b32 s0, s0, 0xffff
	s_mul_i32 s6, s6, s0
	v_add_u32_e32 v0, s6, v0
	v_mul_hi_u32 v1, v0, s10
	s_load_dwordx4 s[0:3], s[4:5], 0x18
	s_waitcnt lgkmcnt(0)
	s_load_dword s3, s[4:5], 0x2c
	v_add_u32_e32 v1, v0, v1
	v_lshrrev_b32_e32 v1, s11, v1
	v_mul_lo_u32 v2, v1, s12
	v_sub_u32_e32 v0, v0, v2
	v_mul_hi_u32 v2, v0, s13
	v_add_u32_e32 v2, v0, v2
	v_lshrrev_b32_e32 v3, s14, v2
	v_mul_lo_u32 v2, v3, s15
	v_cmp_gt_u32_e32 vcc, s8, v3
	v_sub_u32_e32 v0, v0, v2
	v_mul_hi_u32 v2, v0, s0
	v_add_u32_e32 v2, v0, v2
	v_lshrrev_b32_e32 v4, s1, v2
	v_mul_lo_u32 v2, v4, s2
	s_waitcnt lgkmcnt(0)
	v_cmp_gt_u32_e64 s[0:1], s3, v4
	v_sub_u32_e32 v0, v0, v2
	v_cmp_gt_u32_e64 s[2:3], s2, v0
	s_and_b64 s[0:1], s[2:3], s[0:1]
	s_and_b64 s[0:1], s[0:1], vcc
	v_cmp_gt_u32_e32 vcc, s9, v1
	s_and_b64 s[0:1], vcc, s[0:1]
	s_and_saveexec_b64 s[2:3], s[0:1]
	s_cbranch_execz .LBB126_4
; %bb.1:
	s_load_dwordx2 s[6:7], s[4:5], 0x0
	s_load_dwordx4 s[0:3], s[4:5], 0xa8
	s_load_dwordx8 s[8:15], s[4:5], 0x88
	s_load_dwordx4 s[24:27], s[4:5], 0x78
	s_load_dwordx8 s[16:23], s[4:5], 0x58
	v_mov_b32_e32 v2, 0
	s_waitcnt lgkmcnt(0)
	s_cmp_eq_u64 s[6:7], 0
	v_mov_b32_e32 v5, 0
	s_cbranch_scc1 .LBB126_3
; %bb.2:
	v_mul_lo_u32 v5, v1, s14
	v_mul_lo_u32 v7, v3, s13
	;; [unrolled: 1-line block ×3, first 2 shown]
	v_mov_b32_e32 v6, 0
	v_mov_b32_e32 v9, s7
	v_add3_u32 v5, v7, v5, v8
	v_lshlrev_b64 v[7:8], 1, v[5:6]
	v_mul_lo_u32 v5, v0, s11
	v_add_co_u32_e32 v7, vcc, s6, v7
	v_addc_co_u32_e32 v8, vcc, v9, v8, vcc
	v_lshlrev_b64 v[5:6], 1, v[5:6]
	v_add_co_u32_e32 v5, vcc, v7, v5
	v_addc_co_u32_e32 v6, vcc, v8, v6, vcc
	global_load_ushort v5, v[5:6], off
	s_waitcnt vmcnt(0)
	v_cvt_f32_f16_e32 v5, v5
.LBB126_3:
	v_mul_hi_u32 v6, s19, v4
	v_mul_hi_u32 v7, s22, v3
	;; [unrolled: 1-line block ×4, first 2 shown]
	v_add_u32_e32 v6, v4, v6
	v_add_u32_e32 v7, v3, v7
	;; [unrolled: 1-line block ×3, first 2 shown]
	v_lshrrev_b32_e32 v6, s20, v6
	v_lshrrev_b32_e32 v7, s23, v7
	;; [unrolled: 1-line block ×3, first 2 shown]
	v_mul_lo_u32 v6, v6, s21
	v_mul_lo_u32 v7, v7, s24
	;; [unrolled: 1-line block ×3, first 2 shown]
	v_add_u32_e32 v9, v0, v9
	v_sub_u32_e32 v6, v4, v6
	v_sub_u32_e32 v7, v3, v7
	;; [unrolled: 1-line block ×3, first 2 shown]
	v_lshrrev_b32_e32 v9, s17, v9
	v_mul_lo_u32 v8, v8, s2
	v_mul_lo_u32 v7, v7, s1
	;; [unrolled: 1-line block ×5, first 2 shown]
	v_add3_u32 v6, v7, v8, v6
	v_sub_u32_e32 v7, v0, v9
	v_mul_lo_u32 v7, v7, s15
	s_load_dwordx2 s[0:1], s[4:5], 0xd8
	s_load_dwordx8 s[12:19], s[4:5], 0xb8
	v_ashrrev_i32_e32 v8, 31, v6
	v_ashrrev_i32_e32 v9, 31, v7
	v_add_co_u32_e32 v6, vcc, v7, v6
	v_addc_co_u32_e32 v7, vcc, v9, v8, vcc
	v_lshlrev_b64 v[6:7], 2, v[6:7]
	s_waitcnt lgkmcnt(0)
	v_mov_b32_e32 v9, s13
	v_add_co_u32_e32 v8, vcc, s12, v6
	v_addc_co_u32_e32 v9, vcc, v9, v7, vcc
	global_load_dword v10, v[8:9], off
	v_mov_b32_e32 v9, s15
	v_add_co_u32_e32 v8, vcc, s14, v6
	v_addc_co_u32_e32 v9, vcc, v9, v7, vcc
	global_load_dword v11, v[8:9], off
	;; [unrolled: 4-line block ×5, first 2 shown]
	v_mul_lo_u32 v7, v1, s10
	v_mul_lo_u32 v9, v3, s9
	s_load_dwordx2 s[0:1], s[4:5], 0x10
	v_mov_b32_e32 v1, v2
	v_lshlrev_b64 v[3:4], 2, v[0:1]
	v_add3_u32 v1, v9, v7, v13
	v_lshlrev_b64 v[0:1], 2, v[1:2]
	s_waitcnt lgkmcnt(0)
	v_mov_b32_e32 v2, s1
	v_add_co_u32_e32 v0, vcc, s0, v0
	v_addc_co_u32_e32 v1, vcc, v2, v1, vcc
	v_add_co_u32_e32 v0, vcc, v0, v3
	v_addc_co_u32_e32 v1, vcc, v1, v4, vcc
	s_waitcnt vmcnt(4)
	v_mul_f32_e32 v2, v5, v10
	s_waitcnt vmcnt(3)
	v_mul_f32_e32 v2, v2, v11
	;; [unrolled: 2-line block ×5, first 2 shown]
	global_store_dword v[0:1], v2, off
.LBB126_4:
	s_endpgm
	.section	.rodata,"a",@progbits
	.p2align	6, 0x0
	.amdhsa_kernel _ZL19k_bin_bcast_unravelIXadL_ZL6op_mulffEE6__halfffJPKfS2_S2_S2_S2_EEvPKT0_PKT1_PT2_15HIP_vector_typeIjLj3EESC_SC_jSC_SC_SC_SC_SC_SC_iiiiiiiiiiiDpT3_
		.amdhsa_group_segment_fixed_size 0
		.amdhsa_private_segment_fixed_size 0
		.amdhsa_kernarg_size 480
		.amdhsa_user_sgpr_count 6
		.amdhsa_user_sgpr_private_segment_buffer 1
		.amdhsa_user_sgpr_dispatch_ptr 0
		.amdhsa_user_sgpr_queue_ptr 0
		.amdhsa_user_sgpr_kernarg_segment_ptr 1
		.amdhsa_user_sgpr_dispatch_id 0
		.amdhsa_user_sgpr_flat_scratch_init 0
		.amdhsa_user_sgpr_private_segment_size 0
		.amdhsa_uses_dynamic_stack 0
		.amdhsa_system_sgpr_private_segment_wavefront_offset 0
		.amdhsa_system_sgpr_workgroup_id_x 1
		.amdhsa_system_sgpr_workgroup_id_y 0
		.amdhsa_system_sgpr_workgroup_id_z 0
		.amdhsa_system_sgpr_workgroup_info 0
		.amdhsa_system_vgpr_workitem_id 0
		.amdhsa_next_free_vgpr 14
		.amdhsa_next_free_sgpr 28
		.amdhsa_reserve_vcc 1
		.amdhsa_reserve_flat_scratch 0
		.amdhsa_float_round_mode_32 0
		.amdhsa_float_round_mode_16_64 0
		.amdhsa_float_denorm_mode_32 3
		.amdhsa_float_denorm_mode_16_64 3
		.amdhsa_dx10_clamp 1
		.amdhsa_ieee_mode 1
		.amdhsa_fp16_overflow 0
		.amdhsa_exception_fp_ieee_invalid_op 0
		.amdhsa_exception_fp_denorm_src 0
		.amdhsa_exception_fp_ieee_div_zero 0
		.amdhsa_exception_fp_ieee_overflow 0
		.amdhsa_exception_fp_ieee_underflow 0
		.amdhsa_exception_fp_ieee_inexact 0
		.amdhsa_exception_int_div_zero 0
	.end_amdhsa_kernel
	.section	.text._ZL19k_bin_bcast_unravelIXadL_ZL6op_mulffEE6__halfffJPKfS2_S2_S2_S2_EEvPKT0_PKT1_PT2_15HIP_vector_typeIjLj3EESC_SC_jSC_SC_SC_SC_SC_SC_iiiiiiiiiiiDpT3_,"axG",@progbits,_ZL19k_bin_bcast_unravelIXadL_ZL6op_mulffEE6__halfffJPKfS2_S2_S2_S2_EEvPKT0_PKT1_PT2_15HIP_vector_typeIjLj3EESC_SC_jSC_SC_SC_SC_SC_SC_iiiiiiiiiiiDpT3_,comdat
.Lfunc_end126:
	.size	_ZL19k_bin_bcast_unravelIXadL_ZL6op_mulffEE6__halfffJPKfS2_S2_S2_S2_EEvPKT0_PKT1_PT2_15HIP_vector_typeIjLj3EESC_SC_jSC_SC_SC_SC_SC_SC_iiiiiiiiiiiDpT3_, .Lfunc_end126-_ZL19k_bin_bcast_unravelIXadL_ZL6op_mulffEE6__halfffJPKfS2_S2_S2_S2_EEvPKT0_PKT1_PT2_15HIP_vector_typeIjLj3EESC_SC_jSC_SC_SC_SC_SC_SC_iiiiiiiiiiiDpT3_
                                        ; -- End function
	.set _ZL19k_bin_bcast_unravelIXadL_ZL6op_mulffEE6__halfffJPKfS2_S2_S2_S2_EEvPKT0_PKT1_PT2_15HIP_vector_typeIjLj3EESC_SC_jSC_SC_SC_SC_SC_SC_iiiiiiiiiiiDpT3_.num_vgpr, 14
	.set _ZL19k_bin_bcast_unravelIXadL_ZL6op_mulffEE6__halfffJPKfS2_S2_S2_S2_EEvPKT0_PKT1_PT2_15HIP_vector_typeIjLj3EESC_SC_jSC_SC_SC_SC_SC_SC_iiiiiiiiiiiDpT3_.num_agpr, 0
	.set _ZL19k_bin_bcast_unravelIXadL_ZL6op_mulffEE6__halfffJPKfS2_S2_S2_S2_EEvPKT0_PKT1_PT2_15HIP_vector_typeIjLj3EESC_SC_jSC_SC_SC_SC_SC_SC_iiiiiiiiiiiDpT3_.numbered_sgpr, 28
	.set _ZL19k_bin_bcast_unravelIXadL_ZL6op_mulffEE6__halfffJPKfS2_S2_S2_S2_EEvPKT0_PKT1_PT2_15HIP_vector_typeIjLj3EESC_SC_jSC_SC_SC_SC_SC_SC_iiiiiiiiiiiDpT3_.num_named_barrier, 0
	.set _ZL19k_bin_bcast_unravelIXadL_ZL6op_mulffEE6__halfffJPKfS2_S2_S2_S2_EEvPKT0_PKT1_PT2_15HIP_vector_typeIjLj3EESC_SC_jSC_SC_SC_SC_SC_SC_iiiiiiiiiiiDpT3_.private_seg_size, 0
	.set _ZL19k_bin_bcast_unravelIXadL_ZL6op_mulffEE6__halfffJPKfS2_S2_S2_S2_EEvPKT0_PKT1_PT2_15HIP_vector_typeIjLj3EESC_SC_jSC_SC_SC_SC_SC_SC_iiiiiiiiiiiDpT3_.uses_vcc, 1
	.set _ZL19k_bin_bcast_unravelIXadL_ZL6op_mulffEE6__halfffJPKfS2_S2_S2_S2_EEvPKT0_PKT1_PT2_15HIP_vector_typeIjLj3EESC_SC_jSC_SC_SC_SC_SC_SC_iiiiiiiiiiiDpT3_.uses_flat_scratch, 0
	.set _ZL19k_bin_bcast_unravelIXadL_ZL6op_mulffEE6__halfffJPKfS2_S2_S2_S2_EEvPKT0_PKT1_PT2_15HIP_vector_typeIjLj3EESC_SC_jSC_SC_SC_SC_SC_SC_iiiiiiiiiiiDpT3_.has_dyn_sized_stack, 0
	.set _ZL19k_bin_bcast_unravelIXadL_ZL6op_mulffEE6__halfffJPKfS2_S2_S2_S2_EEvPKT0_PKT1_PT2_15HIP_vector_typeIjLj3EESC_SC_jSC_SC_SC_SC_SC_SC_iiiiiiiiiiiDpT3_.has_recursion, 0
	.set _ZL19k_bin_bcast_unravelIXadL_ZL6op_mulffEE6__halfffJPKfS2_S2_S2_S2_EEvPKT0_PKT1_PT2_15HIP_vector_typeIjLj3EESC_SC_jSC_SC_SC_SC_SC_SC_iiiiiiiiiiiDpT3_.has_indirect_call, 0
	.section	.AMDGPU.csdata,"",@progbits
; Kernel info:
; codeLenInByte = 776
; TotalNumSgprs: 32
; NumVgprs: 14
; ScratchSize: 0
; MemoryBound: 0
; FloatMode: 240
; IeeeMode: 1
; LDSByteSize: 0 bytes/workgroup (compile time only)
; SGPRBlocks: 3
; VGPRBlocks: 3
; NumSGPRsForWavesPerEU: 32
; NumVGPRsForWavesPerEU: 14
; Occupancy: 10
; WaveLimiterHint : 1
; COMPUTE_PGM_RSRC2:SCRATCH_EN: 0
; COMPUTE_PGM_RSRC2:USER_SGPR: 6
; COMPUTE_PGM_RSRC2:TRAP_HANDLER: 0
; COMPUTE_PGM_RSRC2:TGID_X_EN: 1
; COMPUTE_PGM_RSRC2:TGID_Y_EN: 0
; COMPUTE_PGM_RSRC2:TGID_Z_EN: 0
; COMPUTE_PGM_RSRC2:TIDIG_COMP_CNT: 0
	.section	.text._ZL11k_bin_bcastIXadL_ZL6op_mulffEE6__halfffJPKfS2_S2_S2_S2_EEvPKT0_PKT1_PT2_iii15HIP_vector_typeIjLj3EESC_SC_SC_SC_iiiiiiiiiiiDpT3_,"axG",@progbits,_ZL11k_bin_bcastIXadL_ZL6op_mulffEE6__halfffJPKfS2_S2_S2_S2_EEvPKT0_PKT1_PT2_iii15HIP_vector_typeIjLj3EESC_SC_SC_SC_iiiiiiiiiiiDpT3_,comdat
	.globl	_ZL11k_bin_bcastIXadL_ZL6op_mulffEE6__halfffJPKfS2_S2_S2_S2_EEvPKT0_PKT1_PT2_iii15HIP_vector_typeIjLj3EESC_SC_SC_SC_iiiiiiiiiiiDpT3_ ; -- Begin function _ZL11k_bin_bcastIXadL_ZL6op_mulffEE6__halfffJPKfS2_S2_S2_S2_EEvPKT0_PKT1_PT2_iii15HIP_vector_typeIjLj3EESC_SC_SC_SC_iiiiiiiiiiiDpT3_
	.p2align	8
	.type	_ZL11k_bin_bcastIXadL_ZL6op_mulffEE6__halfffJPKfS2_S2_S2_S2_EEvPKT0_PKT1_PT2_iii15HIP_vector_typeIjLj3EESC_SC_SC_SC_iiiiiiiiiiiDpT3_,@function
_ZL11k_bin_bcastIXadL_ZL6op_mulffEE6__halfffJPKfS2_S2_S2_S2_EEvPKT0_PKT1_PT2_iii15HIP_vector_typeIjLj3EESC_SC_SC_SC_iiiiiiiiiiiDpT3_: ; @_ZL11k_bin_bcastIXadL_ZL6op_mulffEE6__halfffJPKfS2_S2_S2_S2_EEvPKT0_PKT1_PT2_iii15HIP_vector_typeIjLj3EESC_SC_SC_SC_iiiiiiiiiiiDpT3_
; %bb.0:
	s_load_dwordx2 s[0:1], s[4:5], 0xc4
	s_load_dwordx8 s[12:19], s[4:5], 0x18
	s_add_u32 s2, s4, 0xb8
	s_addc_u32 s3, s5, 0
	s_waitcnt lgkmcnt(0)
	s_and_b32 s1, s1, 0xffff
	s_mul_i32 s8, s8, s1
	v_add_u32_e32 v3, s8, v2
	v_mul_hi_u32 v2, v3, s15
	s_lshr_b32 s1, s0, 16
	s_and_b32 s8, s0, 0xffff
	s_mul_i32 s6, s6, s8
	v_add_u32_e32 v2, v3, v2
	v_lshrrev_b32_e32 v2, s16, v2
	v_mul_lo_u32 v4, v2, s17
	s_mul_i32 s7, s7, s1
	v_add_u32_e32 v0, s6, v0
	v_add_u32_e32 v1, s7, v1
	v_cmp_gt_u32_e32 vcc, s12, v0
	v_cmp_gt_u32_e64 s[0:1], s13, v1
	v_sub_u32_e32 v3, v3, v4
	s_and_b64 s[0:1], vcc, s[0:1]
	v_cmp_gt_u32_e32 vcc, s14, v2
	s_and_b64 s[0:1], s[0:1], vcc
	v_cmp_gt_u32_e32 vcc, s17, v3
	s_and_b64 s[0:1], s[0:1], vcc
	s_and_saveexec_b64 s[6:7], s[0:1]
	s_cbranch_execz .LBB127_6
; %bb.1:
	v_cmp_gt_i32_e32 vcc, s12, v0
	s_and_b64 exec, exec, vcc
	s_cbranch_execz .LBB127_6
; %bb.2:
	s_load_dwordx8 s[36:43], s[4:5], 0x3c
	s_load_dwordx8 s[20:27], s[4:5], 0x60
	s_load_dwordx4 s[28:31], s[4:5], 0x80
	s_load_dword s9, s[2:3], 0x0
	s_load_dword s0, s[4:5], 0x5c
	s_waitcnt lgkmcnt(0)
	v_mul_hi_u32 v4, s36, v1
	v_mul_hi_u32 v5, s39, v2
	;; [unrolled: 1-line block ×3, first 2 shown]
	v_mul_lo_u32 v7, v3, s26
	v_add_u32_e32 v4, v1, v4
	v_add_u32_e32 v5, v2, v5
	;; [unrolled: 1-line block ×3, first 2 shown]
	v_lshrrev_b32_e32 v4, s37, v4
	v_lshrrev_b32_e32 v5, s40, v5
	;; [unrolled: 1-line block ×3, first 2 shown]
	v_mul_lo_u32 v4, v4, s38
	v_mul_lo_u32 v5, v5, s41
	v_mul_lo_u32 v6, v6, s0
	v_mul_lo_u32 v8, v2, s25
	v_mul_lo_u32 v9, v1, s24
	v_sub_u32_e32 v4, v1, v4
	v_sub_u32_e32 v5, v2, v5
	;; [unrolled: 1-line block ×3, first 2 shown]
	s_load_dword s10, s[4:5], 0x38
	s_load_dwordx2 s[0:1], s[4:5], 0x0
	s_load_dwordx2 s[2:3], s[4:5], 0x10
	v_mul_lo_u32 v6, v6, s30
	v_mul_lo_u32 v5, v5, s29
	;; [unrolled: 1-line block ×6, first 2 shown]
	v_add3_u32 v1, v8, v9, v7
	v_mov_b32_e32 v2, 0
	v_mov_b32_e32 v8, v2
	v_lshlrev_b64 v[1:2], 1, v[1:2]
	v_add3_u32 v4, v5, v6, v4
	v_add3_u32 v7, v10, v11, v3
	s_waitcnt lgkmcnt(0)
	v_mov_b32_e32 v3, s1
	v_add_co_u32_e32 v5, vcc, s0, v1
	v_addc_co_u32_e32 v6, vcc, v3, v2, vcc
	v_lshlrev_b64 v[1:2], 2, v[7:8]
	s_load_dwordx2 s[6:7], s[4:5], 0xb0
	s_load_dwordx8 s[36:43], s[4:5], 0x90
	v_mov_b32_e32 v3, s3
	v_add_co_u32_e32 v7, vcc, s2, v1
	v_addc_co_u32_e32 v8, vcc, v3, v2, vcc
	s_cmp_lg_u64 s[0:1], 0
	v_mul_lo_u32 v2, s23, v0
	s_cselect_b64 s[0:1], -1, 0
	s_mul_i32 s8, s9, s8
	v_cndmask_b32_e64 v1, 0, 1, s[0:1]
	s_mov_b64 s[4:5], 0
	s_mul_i32 s9, s8, s23
	s_sub_i32 s10, 0, s10
	v_cmp_ne_u32_e64 s[0:1], 1, v1
	s_waitcnt lgkmcnt(0)
	v_mov_b32_e32 v9, s37
	v_mov_b32_e32 v10, s39
	;; [unrolled: 1-line block ×5, first 2 shown]
	s_branch .LBB127_4
.LBB127_3:                              ;   in Loop: Header=BB127_4 Depth=1
	v_mul_hi_u32 v1, s18, v0
	v_add_u32_e32 v2, s9, v2
	v_add_u32_e32 v1, v0, v1
	v_lshrrev_b32_e32 v1, s19, v1
	v_mad_u64_u32 v[14:15], s[2:3], s10, v1, v[0:1]
	v_mul_lo_u32 v1, v14, s27
	v_add_co_u32_e32 v14, vcc, v1, v4
	v_addc_co_u32_e64 v15, s[2:3], 0, 0, vcc
	v_lshlrev_b64 v[14:15], 2, v[14:15]
	v_ashrrev_i32_e32 v1, 31, v0
	v_add_co_u32_e32 v16, vcc, s36, v14
	v_addc_co_u32_e32 v17, vcc, v9, v15, vcc
	v_add_co_u32_e32 v18, vcc, s38, v14
	v_addc_co_u32_e32 v19, vcc, v10, v15, vcc
	;; [unrolled: 2-line block ×5, first 2 shown]
	global_load_dword v24, v[16:17], off
	global_load_dword v25, v[18:19], off
	;; [unrolled: 1-line block ×5, first 2 shown]
	v_lshlrev_b64 v[14:15], 2, v[0:1]
	v_add_u32_e32 v0, s8, v0
	v_cmp_le_i32_e32 vcc, s12, v0
	v_add_co_u32_e64 v14, s[2:3], v7, v14
	v_addc_co_u32_e64 v15, s[2:3], v8, v15, s[2:3]
	s_or_b64 s[4:5], vcc, s[4:5]
	s_waitcnt vmcnt(4)
	v_mul_f32_e32 v1, v3, v24
	s_waitcnt vmcnt(3)
	v_mul_f32_e32 v1, v1, v25
	;; [unrolled: 2-line block ×5, first 2 shown]
	global_store_dword v[14:15], v1, off
	s_andn2_b64 exec, exec, s[4:5]
	s_cbranch_execz .LBB127_6
.LBB127_4:                              ; =>This Inner Loop Header: Depth=1
	s_and_b64 vcc, exec, s[0:1]
	v_mov_b32_e32 v3, 0
	s_cbranch_vccnz .LBB127_3
; %bb.5:                                ;   in Loop: Header=BB127_4 Depth=1
	v_ashrrev_i32_e32 v3, 31, v2
	v_lshlrev_b64 v[14:15], 1, v[2:3]
	v_add_co_u32_e32 v14, vcc, v5, v14
	v_addc_co_u32_e32 v15, vcc, v6, v15, vcc
	global_load_ushort v1, v[14:15], off
	s_waitcnt vmcnt(0)
	v_cvt_f32_f16_e32 v3, v1
	s_branch .LBB127_3
.LBB127_6:
	s_endpgm
	.section	.rodata,"a",@progbits
	.p2align	6, 0x0
	.amdhsa_kernel _ZL11k_bin_bcastIXadL_ZL6op_mulffEE6__halfffJPKfS2_S2_S2_S2_EEvPKT0_PKT1_PT2_iii15HIP_vector_typeIjLj3EESC_SC_SC_SC_iiiiiiiiiiiDpT3_
		.amdhsa_group_segment_fixed_size 0
		.amdhsa_private_segment_fixed_size 0
		.amdhsa_kernarg_size 440
		.amdhsa_user_sgpr_count 6
		.amdhsa_user_sgpr_private_segment_buffer 1
		.amdhsa_user_sgpr_dispatch_ptr 0
		.amdhsa_user_sgpr_queue_ptr 0
		.amdhsa_user_sgpr_kernarg_segment_ptr 1
		.amdhsa_user_sgpr_dispatch_id 0
		.amdhsa_user_sgpr_flat_scratch_init 0
		.amdhsa_user_sgpr_private_segment_size 0
		.amdhsa_uses_dynamic_stack 0
		.amdhsa_system_sgpr_private_segment_wavefront_offset 0
		.amdhsa_system_sgpr_workgroup_id_x 1
		.amdhsa_system_sgpr_workgroup_id_y 1
		.amdhsa_system_sgpr_workgroup_id_z 1
		.amdhsa_system_sgpr_workgroup_info 0
		.amdhsa_system_vgpr_workitem_id 2
		.amdhsa_next_free_vgpr 29
		.amdhsa_next_free_sgpr 44
		.amdhsa_reserve_vcc 1
		.amdhsa_reserve_flat_scratch 0
		.amdhsa_float_round_mode_32 0
		.amdhsa_float_round_mode_16_64 0
		.amdhsa_float_denorm_mode_32 3
		.amdhsa_float_denorm_mode_16_64 3
		.amdhsa_dx10_clamp 1
		.amdhsa_ieee_mode 1
		.amdhsa_fp16_overflow 0
		.amdhsa_exception_fp_ieee_invalid_op 0
		.amdhsa_exception_fp_denorm_src 0
		.amdhsa_exception_fp_ieee_div_zero 0
		.amdhsa_exception_fp_ieee_overflow 0
		.amdhsa_exception_fp_ieee_underflow 0
		.amdhsa_exception_fp_ieee_inexact 0
		.amdhsa_exception_int_div_zero 0
	.end_amdhsa_kernel
	.section	.text._ZL11k_bin_bcastIXadL_ZL6op_mulffEE6__halfffJPKfS2_S2_S2_S2_EEvPKT0_PKT1_PT2_iii15HIP_vector_typeIjLj3EESC_SC_SC_SC_iiiiiiiiiiiDpT3_,"axG",@progbits,_ZL11k_bin_bcastIXadL_ZL6op_mulffEE6__halfffJPKfS2_S2_S2_S2_EEvPKT0_PKT1_PT2_iii15HIP_vector_typeIjLj3EESC_SC_SC_SC_iiiiiiiiiiiDpT3_,comdat
.Lfunc_end127:
	.size	_ZL11k_bin_bcastIXadL_ZL6op_mulffEE6__halfffJPKfS2_S2_S2_S2_EEvPKT0_PKT1_PT2_iii15HIP_vector_typeIjLj3EESC_SC_SC_SC_iiiiiiiiiiiDpT3_, .Lfunc_end127-_ZL11k_bin_bcastIXadL_ZL6op_mulffEE6__halfffJPKfS2_S2_S2_S2_EEvPKT0_PKT1_PT2_iii15HIP_vector_typeIjLj3EESC_SC_SC_SC_iiiiiiiiiiiDpT3_
                                        ; -- End function
	.set _ZL11k_bin_bcastIXadL_ZL6op_mulffEE6__halfffJPKfS2_S2_S2_S2_EEvPKT0_PKT1_PT2_iii15HIP_vector_typeIjLj3EESC_SC_SC_SC_iiiiiiiiiiiDpT3_.num_vgpr, 29
	.set _ZL11k_bin_bcastIXadL_ZL6op_mulffEE6__halfffJPKfS2_S2_S2_S2_EEvPKT0_PKT1_PT2_iii15HIP_vector_typeIjLj3EESC_SC_SC_SC_iiiiiiiiiiiDpT3_.num_agpr, 0
	.set _ZL11k_bin_bcastIXadL_ZL6op_mulffEE6__halfffJPKfS2_S2_S2_S2_EEvPKT0_PKT1_PT2_iii15HIP_vector_typeIjLj3EESC_SC_SC_SC_iiiiiiiiiiiDpT3_.numbered_sgpr, 44
	.set _ZL11k_bin_bcastIXadL_ZL6op_mulffEE6__halfffJPKfS2_S2_S2_S2_EEvPKT0_PKT1_PT2_iii15HIP_vector_typeIjLj3EESC_SC_SC_SC_iiiiiiiiiiiDpT3_.num_named_barrier, 0
	.set _ZL11k_bin_bcastIXadL_ZL6op_mulffEE6__halfffJPKfS2_S2_S2_S2_EEvPKT0_PKT1_PT2_iii15HIP_vector_typeIjLj3EESC_SC_SC_SC_iiiiiiiiiiiDpT3_.private_seg_size, 0
	.set _ZL11k_bin_bcastIXadL_ZL6op_mulffEE6__halfffJPKfS2_S2_S2_S2_EEvPKT0_PKT1_PT2_iii15HIP_vector_typeIjLj3EESC_SC_SC_SC_iiiiiiiiiiiDpT3_.uses_vcc, 1
	.set _ZL11k_bin_bcastIXadL_ZL6op_mulffEE6__halfffJPKfS2_S2_S2_S2_EEvPKT0_PKT1_PT2_iii15HIP_vector_typeIjLj3EESC_SC_SC_SC_iiiiiiiiiiiDpT3_.uses_flat_scratch, 0
	.set _ZL11k_bin_bcastIXadL_ZL6op_mulffEE6__halfffJPKfS2_S2_S2_S2_EEvPKT0_PKT1_PT2_iii15HIP_vector_typeIjLj3EESC_SC_SC_SC_iiiiiiiiiiiDpT3_.has_dyn_sized_stack, 0
	.set _ZL11k_bin_bcastIXadL_ZL6op_mulffEE6__halfffJPKfS2_S2_S2_S2_EEvPKT0_PKT1_PT2_iii15HIP_vector_typeIjLj3EESC_SC_SC_SC_iiiiiiiiiiiDpT3_.has_recursion, 0
	.set _ZL11k_bin_bcastIXadL_ZL6op_mulffEE6__halfffJPKfS2_S2_S2_S2_EEvPKT0_PKT1_PT2_iii15HIP_vector_typeIjLj3EESC_SC_SC_SC_iiiiiiiiiiiDpT3_.has_indirect_call, 0
	.section	.AMDGPU.csdata,"",@progbits
; Kernel info:
; codeLenInByte = 836
; TotalNumSgprs: 48
; NumVgprs: 29
; ScratchSize: 0
; MemoryBound: 0
; FloatMode: 240
; IeeeMode: 1
; LDSByteSize: 0 bytes/workgroup (compile time only)
; SGPRBlocks: 5
; VGPRBlocks: 7
; NumSGPRsForWavesPerEU: 48
; NumVGPRsForWavesPerEU: 29
; Occupancy: 8
; WaveLimiterHint : 1
; COMPUTE_PGM_RSRC2:SCRATCH_EN: 0
; COMPUTE_PGM_RSRC2:USER_SGPR: 6
; COMPUTE_PGM_RSRC2:TRAP_HANDLER: 0
; COMPUTE_PGM_RSRC2:TGID_X_EN: 1
; COMPUTE_PGM_RSRC2:TGID_Y_EN: 1
; COMPUTE_PGM_RSRC2:TGID_Z_EN: 1
; COMPUTE_PGM_RSRC2:TIDIG_COMP_CNT: 2
	.section	.text._ZL19k_bin_bcast_unravelIXadL_ZL6op_mulffEEfffJPKfS1_S1_S1_S1_S1_EEvPKT0_PKT1_PT2_15HIP_vector_typeIjLj3EESB_SB_jSB_SB_SB_SB_SB_SB_iiiiiiiiiiiDpT3_,"axG",@progbits,_ZL19k_bin_bcast_unravelIXadL_ZL6op_mulffEEfffJPKfS1_S1_S1_S1_S1_EEvPKT0_PKT1_PT2_15HIP_vector_typeIjLj3EESB_SB_jSB_SB_SB_SB_SB_SB_iiiiiiiiiiiDpT3_,comdat
	.globl	_ZL19k_bin_bcast_unravelIXadL_ZL6op_mulffEEfffJPKfS1_S1_S1_S1_S1_EEvPKT0_PKT1_PT2_15HIP_vector_typeIjLj3EESB_SB_jSB_SB_SB_SB_SB_SB_iiiiiiiiiiiDpT3_ ; -- Begin function _ZL19k_bin_bcast_unravelIXadL_ZL6op_mulffEEfffJPKfS1_S1_S1_S1_S1_EEvPKT0_PKT1_PT2_15HIP_vector_typeIjLj3EESB_SB_jSB_SB_SB_SB_SB_SB_iiiiiiiiiiiDpT3_
	.p2align	8
	.type	_ZL19k_bin_bcast_unravelIXadL_ZL6op_mulffEEfffJPKfS1_S1_S1_S1_S1_EEvPKT0_PKT1_PT2_15HIP_vector_typeIjLj3EESB_SB_jSB_SB_SB_SB_SB_SB_iiiiiiiiiiiDpT3_,@function
_ZL19k_bin_bcast_unravelIXadL_ZL6op_mulffEEfffJPKfS1_S1_S1_S1_S1_EEvPKT0_PKT1_PT2_15HIP_vector_typeIjLj3EESB_SB_jSB_SB_SB_SB_SB_SB_iiiiiiiiiiiDpT3_: ; @_ZL19k_bin_bcast_unravelIXadL_ZL6op_mulffEEfffJPKfS1_S1_S1_S1_S1_EEvPKT0_PKT1_PT2_15HIP_vector_typeIjLj3EESB_SB_jSB_SB_SB_SB_SB_SB_iiiiiiiiiiiDpT3_
; %bb.0:
	s_load_dword s0, s[4:5], 0xf4
	s_load_dwordx8 s[8:15], s[4:5], 0x38
	s_waitcnt lgkmcnt(0)
	s_and_b32 s0, s0, 0xffff
	s_mul_i32 s6, s6, s0
	v_add_u32_e32 v0, s6, v0
	v_mul_hi_u32 v1, v0, s10
	s_load_dwordx4 s[0:3], s[4:5], 0x18
	s_waitcnt lgkmcnt(0)
	s_load_dword s3, s[4:5], 0x2c
	v_add_u32_e32 v1, v0, v1
	v_lshrrev_b32_e32 v1, s11, v1
	v_mul_lo_u32 v2, v1, s12
	v_sub_u32_e32 v0, v0, v2
	v_mul_hi_u32 v2, v0, s13
	v_add_u32_e32 v2, v0, v2
	v_lshrrev_b32_e32 v3, s14, v2
	v_mul_lo_u32 v2, v3, s15
	v_cmp_gt_u32_e32 vcc, s8, v3
	v_sub_u32_e32 v0, v0, v2
	v_mul_hi_u32 v2, v0, s0
	v_add_u32_e32 v2, v0, v2
	v_lshrrev_b32_e32 v4, s1, v2
	v_mul_lo_u32 v2, v4, s2
	s_waitcnt lgkmcnt(0)
	v_cmp_gt_u32_e64 s[0:1], s3, v4
	v_sub_u32_e32 v0, v0, v2
	v_cmp_gt_u32_e64 s[2:3], s2, v0
	s_and_b64 s[0:1], s[2:3], s[0:1]
	s_and_b64 s[0:1], s[0:1], vcc
	v_cmp_gt_u32_e32 vcc, s9, v1
	s_and_b64 s[0:1], vcc, s[0:1]
	s_and_saveexec_b64 s[2:3], s[0:1]
	s_cbranch_execz .LBB128_4
; %bb.1:
	s_load_dwordx2 s[6:7], s[4:5], 0x0
	s_load_dwordx4 s[0:3], s[4:5], 0xa8
	s_load_dwordx8 s[8:15], s[4:5], 0x88
	s_load_dwordx4 s[24:27], s[4:5], 0x78
	s_load_dwordx8 s[16:23], s[4:5], 0x58
	v_mov_b32_e32 v2, 0
	s_waitcnt lgkmcnt(0)
	s_cmp_eq_u64 s[6:7], 0
	v_mov_b32_e32 v5, 0
	s_cbranch_scc1 .LBB128_3
; %bb.2:
	v_mul_lo_u32 v5, v1, s14
	v_mul_lo_u32 v7, v3, s13
	;; [unrolled: 1-line block ×3, first 2 shown]
	v_mov_b32_e32 v6, 0
	v_mov_b32_e32 v9, s7
	v_add3_u32 v5, v7, v5, v8
	v_lshlrev_b64 v[7:8], 2, v[5:6]
	v_mul_lo_u32 v5, v0, s11
	v_add_co_u32_e32 v7, vcc, s6, v7
	v_addc_co_u32_e32 v8, vcc, v9, v8, vcc
	v_lshlrev_b64 v[5:6], 2, v[5:6]
	v_add_co_u32_e32 v5, vcc, v7, v5
	v_addc_co_u32_e32 v6, vcc, v8, v6, vcc
	global_load_dword v5, v[5:6], off
.LBB128_3:
	v_mul_hi_u32 v6, s19, v4
	v_mul_hi_u32 v7, s22, v3
	;; [unrolled: 1-line block ×4, first 2 shown]
	v_add_u32_e32 v6, v4, v6
	v_add_u32_e32 v7, v3, v7
	;; [unrolled: 1-line block ×3, first 2 shown]
	v_lshrrev_b32_e32 v6, s20, v6
	v_lshrrev_b32_e32 v7, s23, v7
	;; [unrolled: 1-line block ×3, first 2 shown]
	v_mul_lo_u32 v6, v6, s21
	v_mul_lo_u32 v7, v7, s24
	;; [unrolled: 1-line block ×3, first 2 shown]
	v_add_u32_e32 v9, v0, v9
	v_sub_u32_e32 v6, v4, v6
	v_sub_u32_e32 v7, v3, v7
	;; [unrolled: 1-line block ×3, first 2 shown]
	v_lshrrev_b32_e32 v9, s17, v9
	v_mul_lo_u32 v8, v8, s2
	v_mul_lo_u32 v7, v7, s1
	v_mul_lo_u32 v6, v6, s0
	v_mul_lo_u32 v9, v9, s18
	v_mul_lo_u32 v14, v4, s8
	v_add3_u32 v6, v7, v8, v6
	v_sub_u32_e32 v7, v0, v9
	v_mul_lo_u32 v7, v7, s15
	s_load_dwordx4 s[0:3], s[4:5], 0xd8
	s_load_dwordx8 s[12:19], s[4:5], 0xb8
	v_ashrrev_i32_e32 v8, 31, v6
	v_ashrrev_i32_e32 v9, 31, v7
	v_add_co_u32_e32 v6, vcc, v7, v6
	v_addc_co_u32_e32 v7, vcc, v9, v8, vcc
	v_lshlrev_b64 v[6:7], 2, v[6:7]
	s_waitcnt lgkmcnt(0)
	v_mov_b32_e32 v9, s13
	v_add_co_u32_e32 v8, vcc, s12, v6
	v_addc_co_u32_e32 v9, vcc, v9, v7, vcc
	global_load_dword v10, v[8:9], off
	v_mov_b32_e32 v9, s15
	v_add_co_u32_e32 v8, vcc, s14, v6
	v_addc_co_u32_e32 v9, vcc, v9, v7, vcc
	global_load_dword v11, v[8:9], off
	v_mov_b32_e32 v9, s17
	v_add_co_u32_e32 v8, vcc, s16, v6
	v_addc_co_u32_e32 v9, vcc, v9, v7, vcc
	global_load_dword v12, v[8:9], off
	v_mov_b32_e32 v9, s19
	v_add_co_u32_e32 v8, vcc, s18, v6
	v_addc_co_u32_e32 v9, vcc, v9, v7, vcc
	global_load_dword v13, v[8:9], off
	v_mov_b32_e32 v9, s1
	v_add_co_u32_e32 v8, vcc, s0, v6
	v_addc_co_u32_e32 v9, vcc, v9, v7, vcc
	global_load_dword v8, v[8:9], off
	v_mov_b32_e32 v9, s3
	v_add_co_u32_e32 v6, vcc, s2, v6
	v_addc_co_u32_e32 v7, vcc, v9, v7, vcc
	global_load_dword v6, v[6:7], off
	v_mul_lo_u32 v7, v1, s10
	v_mul_lo_u32 v9, v3, s9
	s_load_dwordx2 s[0:1], s[4:5], 0x10
	v_mov_b32_e32 v1, v2
	v_lshlrev_b64 v[3:4], 2, v[0:1]
	v_add3_u32 v1, v9, v7, v14
	v_lshlrev_b64 v[0:1], 2, v[1:2]
	s_waitcnt lgkmcnt(0)
	v_mov_b32_e32 v2, s1
	v_add_co_u32_e32 v0, vcc, s0, v0
	v_addc_co_u32_e32 v1, vcc, v2, v1, vcc
	v_add_co_u32_e32 v0, vcc, v0, v3
	v_addc_co_u32_e32 v1, vcc, v1, v4, vcc
	s_waitcnt vmcnt(5)
	v_mul_f32_e32 v2, v5, v10
	s_waitcnt vmcnt(4)
	v_mul_f32_e32 v2, v2, v11
	;; [unrolled: 2-line block ×6, first 2 shown]
	global_store_dword v[0:1], v2, off
.LBB128_4:
	s_endpgm
	.section	.rodata,"a",@progbits
	.p2align	6, 0x0
	.amdhsa_kernel _ZL19k_bin_bcast_unravelIXadL_ZL6op_mulffEEfffJPKfS1_S1_S1_S1_S1_EEvPKT0_PKT1_PT2_15HIP_vector_typeIjLj3EESB_SB_jSB_SB_SB_SB_SB_SB_iiiiiiiiiiiDpT3_
		.amdhsa_group_segment_fixed_size 0
		.amdhsa_private_segment_fixed_size 0
		.amdhsa_kernarg_size 488
		.amdhsa_user_sgpr_count 6
		.amdhsa_user_sgpr_private_segment_buffer 1
		.amdhsa_user_sgpr_dispatch_ptr 0
		.amdhsa_user_sgpr_queue_ptr 0
		.amdhsa_user_sgpr_kernarg_segment_ptr 1
		.amdhsa_user_sgpr_dispatch_id 0
		.amdhsa_user_sgpr_flat_scratch_init 0
		.amdhsa_user_sgpr_private_segment_size 0
		.amdhsa_uses_dynamic_stack 0
		.amdhsa_system_sgpr_private_segment_wavefront_offset 0
		.amdhsa_system_sgpr_workgroup_id_x 1
		.amdhsa_system_sgpr_workgroup_id_y 0
		.amdhsa_system_sgpr_workgroup_id_z 0
		.amdhsa_system_sgpr_workgroup_info 0
		.amdhsa_system_vgpr_workitem_id 0
		.amdhsa_next_free_vgpr 15
		.amdhsa_next_free_sgpr 28
		.amdhsa_reserve_vcc 1
		.amdhsa_reserve_flat_scratch 0
		.amdhsa_float_round_mode_32 0
		.amdhsa_float_round_mode_16_64 0
		.amdhsa_float_denorm_mode_32 3
		.amdhsa_float_denorm_mode_16_64 3
		.amdhsa_dx10_clamp 1
		.amdhsa_ieee_mode 1
		.amdhsa_fp16_overflow 0
		.amdhsa_exception_fp_ieee_invalid_op 0
		.amdhsa_exception_fp_denorm_src 0
		.amdhsa_exception_fp_ieee_div_zero 0
		.amdhsa_exception_fp_ieee_overflow 0
		.amdhsa_exception_fp_ieee_underflow 0
		.amdhsa_exception_fp_ieee_inexact 0
		.amdhsa_exception_int_div_zero 0
	.end_amdhsa_kernel
	.section	.text._ZL19k_bin_bcast_unravelIXadL_ZL6op_mulffEEfffJPKfS1_S1_S1_S1_S1_EEvPKT0_PKT1_PT2_15HIP_vector_typeIjLj3EESB_SB_jSB_SB_SB_SB_SB_SB_iiiiiiiiiiiDpT3_,"axG",@progbits,_ZL19k_bin_bcast_unravelIXadL_ZL6op_mulffEEfffJPKfS1_S1_S1_S1_S1_EEvPKT0_PKT1_PT2_15HIP_vector_typeIjLj3EESB_SB_jSB_SB_SB_SB_SB_SB_iiiiiiiiiiiDpT3_,comdat
.Lfunc_end128:
	.size	_ZL19k_bin_bcast_unravelIXadL_ZL6op_mulffEEfffJPKfS1_S1_S1_S1_S1_EEvPKT0_PKT1_PT2_15HIP_vector_typeIjLj3EESB_SB_jSB_SB_SB_SB_SB_SB_iiiiiiiiiiiDpT3_, .Lfunc_end128-_ZL19k_bin_bcast_unravelIXadL_ZL6op_mulffEEfffJPKfS1_S1_S1_S1_S1_EEvPKT0_PKT1_PT2_15HIP_vector_typeIjLj3EESB_SB_jSB_SB_SB_SB_SB_SB_iiiiiiiiiiiDpT3_
                                        ; -- End function
	.set _ZL19k_bin_bcast_unravelIXadL_ZL6op_mulffEEfffJPKfS1_S1_S1_S1_S1_EEvPKT0_PKT1_PT2_15HIP_vector_typeIjLj3EESB_SB_jSB_SB_SB_SB_SB_SB_iiiiiiiiiiiDpT3_.num_vgpr, 15
	.set _ZL19k_bin_bcast_unravelIXadL_ZL6op_mulffEEfffJPKfS1_S1_S1_S1_S1_EEvPKT0_PKT1_PT2_15HIP_vector_typeIjLj3EESB_SB_jSB_SB_SB_SB_SB_SB_iiiiiiiiiiiDpT3_.num_agpr, 0
	.set _ZL19k_bin_bcast_unravelIXadL_ZL6op_mulffEEfffJPKfS1_S1_S1_S1_S1_EEvPKT0_PKT1_PT2_15HIP_vector_typeIjLj3EESB_SB_jSB_SB_SB_SB_SB_SB_iiiiiiiiiiiDpT3_.numbered_sgpr, 28
	.set _ZL19k_bin_bcast_unravelIXadL_ZL6op_mulffEEfffJPKfS1_S1_S1_S1_S1_EEvPKT0_PKT1_PT2_15HIP_vector_typeIjLj3EESB_SB_jSB_SB_SB_SB_SB_SB_iiiiiiiiiiiDpT3_.num_named_barrier, 0
	.set _ZL19k_bin_bcast_unravelIXadL_ZL6op_mulffEEfffJPKfS1_S1_S1_S1_S1_EEvPKT0_PKT1_PT2_15HIP_vector_typeIjLj3EESB_SB_jSB_SB_SB_SB_SB_SB_iiiiiiiiiiiDpT3_.private_seg_size, 0
	.set _ZL19k_bin_bcast_unravelIXadL_ZL6op_mulffEEfffJPKfS1_S1_S1_S1_S1_EEvPKT0_PKT1_PT2_15HIP_vector_typeIjLj3EESB_SB_jSB_SB_SB_SB_SB_SB_iiiiiiiiiiiDpT3_.uses_vcc, 1
	.set _ZL19k_bin_bcast_unravelIXadL_ZL6op_mulffEEfffJPKfS1_S1_S1_S1_S1_EEvPKT0_PKT1_PT2_15HIP_vector_typeIjLj3EESB_SB_jSB_SB_SB_SB_SB_SB_iiiiiiiiiiiDpT3_.uses_flat_scratch, 0
	.set _ZL19k_bin_bcast_unravelIXadL_ZL6op_mulffEEfffJPKfS1_S1_S1_S1_S1_EEvPKT0_PKT1_PT2_15HIP_vector_typeIjLj3EESB_SB_jSB_SB_SB_SB_SB_SB_iiiiiiiiiiiDpT3_.has_dyn_sized_stack, 0
	.set _ZL19k_bin_bcast_unravelIXadL_ZL6op_mulffEEfffJPKfS1_S1_S1_S1_S1_EEvPKT0_PKT1_PT2_15HIP_vector_typeIjLj3EESB_SB_jSB_SB_SB_SB_SB_SB_iiiiiiiiiiiDpT3_.has_recursion, 0
	.set _ZL19k_bin_bcast_unravelIXadL_ZL6op_mulffEEfffJPKfS1_S1_S1_S1_S1_EEvPKT0_PKT1_PT2_15HIP_vector_typeIjLj3EESB_SB_jSB_SB_SB_SB_SB_SB_iiiiiiiiiiiDpT3_.has_indirect_call, 0
	.section	.AMDGPU.csdata,"",@progbits
; Kernel info:
; codeLenInByte = 796
; TotalNumSgprs: 32
; NumVgprs: 15
; ScratchSize: 0
; MemoryBound: 0
; FloatMode: 240
; IeeeMode: 1
; LDSByteSize: 0 bytes/workgroup (compile time only)
; SGPRBlocks: 3
; VGPRBlocks: 3
; NumSGPRsForWavesPerEU: 32
; NumVGPRsForWavesPerEU: 15
; Occupancy: 10
; WaveLimiterHint : 1
; COMPUTE_PGM_RSRC2:SCRATCH_EN: 0
; COMPUTE_PGM_RSRC2:USER_SGPR: 6
; COMPUTE_PGM_RSRC2:TRAP_HANDLER: 0
; COMPUTE_PGM_RSRC2:TGID_X_EN: 1
; COMPUTE_PGM_RSRC2:TGID_Y_EN: 0
; COMPUTE_PGM_RSRC2:TGID_Z_EN: 0
; COMPUTE_PGM_RSRC2:TIDIG_COMP_CNT: 0
	.section	.text._ZL11k_bin_bcastIXadL_ZL6op_mulffEEfffJPKfS1_S1_S1_S1_S1_EEvPKT0_PKT1_PT2_iii15HIP_vector_typeIjLj3EESB_SB_SB_SB_iiiiiiiiiiiDpT3_,"axG",@progbits,_ZL11k_bin_bcastIXadL_ZL6op_mulffEEfffJPKfS1_S1_S1_S1_S1_EEvPKT0_PKT1_PT2_iii15HIP_vector_typeIjLj3EESB_SB_SB_SB_iiiiiiiiiiiDpT3_,comdat
	.globl	_ZL11k_bin_bcastIXadL_ZL6op_mulffEEfffJPKfS1_S1_S1_S1_S1_EEvPKT0_PKT1_PT2_iii15HIP_vector_typeIjLj3EESB_SB_SB_SB_iiiiiiiiiiiDpT3_ ; -- Begin function _ZL11k_bin_bcastIXadL_ZL6op_mulffEEfffJPKfS1_S1_S1_S1_S1_EEvPKT0_PKT1_PT2_iii15HIP_vector_typeIjLj3EESB_SB_SB_SB_iiiiiiiiiiiDpT3_
	.p2align	8
	.type	_ZL11k_bin_bcastIXadL_ZL6op_mulffEEfffJPKfS1_S1_S1_S1_S1_EEvPKT0_PKT1_PT2_iii15HIP_vector_typeIjLj3EESB_SB_SB_SB_iiiiiiiiiiiDpT3_,@function
_ZL11k_bin_bcastIXadL_ZL6op_mulffEEfffJPKfS1_S1_S1_S1_S1_EEvPKT0_PKT1_PT2_iii15HIP_vector_typeIjLj3EESB_SB_SB_SB_iiiiiiiiiiiDpT3_: ; @_ZL11k_bin_bcastIXadL_ZL6op_mulffEEfffJPKfS1_S1_S1_S1_S1_EEvPKT0_PKT1_PT2_iii15HIP_vector_typeIjLj3EESB_SB_SB_SB_iiiiiiiiiiiDpT3_
; %bb.0:
	s_load_dwordx2 s[0:1], s[4:5], 0xcc
	s_load_dwordx8 s[12:19], s[4:5], 0x18
	s_add_u32 s2, s4, 0xc0
	s_addc_u32 s3, s5, 0
	s_waitcnt lgkmcnt(0)
	s_and_b32 s1, s1, 0xffff
	s_mul_i32 s8, s8, s1
	v_add_u32_e32 v3, s8, v2
	v_mul_hi_u32 v2, v3, s15
	s_lshr_b32 s1, s0, 16
	s_and_b32 s15, s0, 0xffff
	s_mul_i32 s6, s6, s15
	v_add_u32_e32 v2, v3, v2
	v_lshrrev_b32_e32 v2, s16, v2
	v_mul_lo_u32 v4, v2, s17
	s_mul_i32 s7, s7, s1
	v_add_u32_e32 v0, s6, v0
	v_add_u32_e32 v1, s7, v1
	v_cmp_gt_u32_e32 vcc, s12, v0
	v_cmp_gt_u32_e64 s[0:1], s13, v1
	v_sub_u32_e32 v3, v3, v4
	s_and_b64 s[0:1], vcc, s[0:1]
	v_cmp_gt_u32_e32 vcc, s14, v2
	s_and_b64 s[0:1], s[0:1], vcc
	v_cmp_gt_u32_e32 vcc, s17, v3
	s_and_b64 s[0:1], s[0:1], vcc
	s_and_saveexec_b64 s[6:7], s[0:1]
	s_cbranch_execz .LBB129_6
; %bb.1:
	v_cmp_gt_i32_e32 vcc, s12, v0
	s_and_b64 exec, exec, vcc
	s_cbranch_execz .LBB129_6
; %bb.2:
	s_load_dwordx8 s[36:43], s[4:5], 0x3c
	s_load_dwordx8 s[20:27], s[4:5], 0x60
	s_load_dwordx4 s[8:11], s[4:5], 0x80
	s_load_dword s6, s[2:3], 0x0
	s_load_dword s0, s[4:5], 0x5c
	s_waitcnt lgkmcnt(0)
	v_mul_hi_u32 v4, s36, v1
	v_mul_hi_u32 v5, s39, v2
	;; [unrolled: 1-line block ×3, first 2 shown]
	v_mul_lo_u32 v7, v3, s26
	v_add_u32_e32 v4, v1, v4
	v_add_u32_e32 v5, v2, v5
	;; [unrolled: 1-line block ×3, first 2 shown]
	v_lshrrev_b32_e32 v4, s37, v4
	v_lshrrev_b32_e32 v5, s40, v5
	;; [unrolled: 1-line block ×3, first 2 shown]
	v_mul_lo_u32 v4, v4, s38
	v_mul_lo_u32 v5, v5, s41
	;; [unrolled: 1-line block ×5, first 2 shown]
	v_sub_u32_e32 v4, v1, v4
	v_sub_u32_e32 v5, v2, v5
	;; [unrolled: 1-line block ×3, first 2 shown]
	s_load_dword s13, s[4:5], 0x38
	s_load_dwordx2 s[0:1], s[4:5], 0x0
	s_load_dwordx2 s[2:3], s[4:5], 0x10
	v_mul_lo_u32 v6, v6, s10
	v_mul_lo_u32 v5, v5, s9
	;; [unrolled: 1-line block ×6, first 2 shown]
	v_add3_u32 v1, v8, v9, v7
	v_mov_b32_e32 v2, 0
	v_mov_b32_e32 v8, v2
	v_lshlrev_b64 v[1:2], 2, v[1:2]
	v_add3_u32 v4, v5, v6, v4
	v_add3_u32 v7, v10, v11, v3
	s_waitcnt lgkmcnt(0)
	v_mov_b32_e32 v3, s1
	v_add_co_u32_e32 v5, vcc, s0, v1
	v_addc_co_u32_e32 v6, vcc, v3, v2, vcc
	v_lshlrev_b64 v[1:2], 2, v[7:8]
	s_load_dwordx4 s[8:11], s[4:5], 0xb0
	s_load_dwordx8 s[36:43], s[4:5], 0x90
	v_mov_b32_e32 v3, s3
	v_add_co_u32_e32 v7, vcc, s2, v1
	v_addc_co_u32_e32 v8, vcc, v3, v2, vcc
	s_cmp_lg_u64 s[0:1], 0
	v_mul_lo_u32 v2, s23, v0
	s_cselect_b64 s[0:1], -1, 0
	s_mul_i32 s6, s6, s15
	v_cndmask_b32_e64 v1, 0, 1, s[0:1]
	s_mov_b64 s[4:5], 0
	s_mul_i32 s7, s6, s23
	s_sub_i32 s13, 0, s13
	v_cmp_ne_u32_e64 s[0:1], 1, v1
	s_waitcnt lgkmcnt(0)
	v_mov_b32_e32 v9, s37
	v_mov_b32_e32 v10, s39
	;; [unrolled: 1-line block ×6, first 2 shown]
	s_branch .LBB129_4
.LBB129_3:                              ;   in Loop: Header=BB129_4 Depth=1
	v_mul_hi_u32 v1, s18, v0
	v_add_u32_e32 v2, s7, v2
	v_add_u32_e32 v1, v0, v1
	v_lshrrev_b32_e32 v1, s19, v1
	v_mad_u64_u32 v[15:16], s[2:3], s13, v1, v[0:1]
	v_mul_lo_u32 v1, v15, s27
	v_add_co_u32_e32 v15, vcc, v1, v4
	v_addc_co_u32_e64 v16, s[2:3], 0, 0, vcc
	v_lshlrev_b64 v[15:16], 2, v[15:16]
	v_ashrrev_i32_e32 v1, 31, v0
	v_add_co_u32_e32 v17, vcc, s36, v15
	v_addc_co_u32_e32 v18, vcc, v9, v16, vcc
	v_add_co_u32_e32 v19, vcc, s38, v15
	v_addc_co_u32_e32 v20, vcc, v10, v16, vcc
	;; [unrolled: 2-line block ×6, first 2 shown]
	global_load_dword v27, v[17:18], off
	global_load_dword v28, v[19:20], off
	;; [unrolled: 1-line block ×6, first 2 shown]
	v_lshlrev_b64 v[15:16], 2, v[0:1]
	v_add_u32_e32 v0, s6, v0
	v_cmp_le_i32_e32 vcc, s12, v0
	v_add_co_u32_e64 v15, s[2:3], v7, v15
	v_addc_co_u32_e64 v16, s[2:3], v8, v16, s[2:3]
	s_or_b64 s[4:5], vcc, s[4:5]
	s_waitcnt vmcnt(5)
	v_mul_f32_e32 v1, v3, v27
	s_waitcnt vmcnt(4)
	v_mul_f32_e32 v1, v1, v28
	;; [unrolled: 2-line block ×6, first 2 shown]
	global_store_dword v[15:16], v1, off
	s_andn2_b64 exec, exec, s[4:5]
	s_cbranch_execz .LBB129_6
.LBB129_4:                              ; =>This Inner Loop Header: Depth=1
	s_and_b64 vcc, exec, s[0:1]
	v_mov_b32_e32 v3, 0
	s_cbranch_vccnz .LBB129_3
; %bb.5:                                ;   in Loop: Header=BB129_4 Depth=1
	v_ashrrev_i32_e32 v3, 31, v2
	v_lshlrev_b64 v[15:16], 2, v[2:3]
	v_add_co_u32_e32 v15, vcc, v5, v15
	v_addc_co_u32_e32 v16, vcc, v6, v16, vcc
	global_load_dword v3, v[15:16], off
	s_branch .LBB129_3
.LBB129_6:
	s_endpgm
	.section	.rodata,"a",@progbits
	.p2align	6, 0x0
	.amdhsa_kernel _ZL11k_bin_bcastIXadL_ZL6op_mulffEEfffJPKfS1_S1_S1_S1_S1_EEvPKT0_PKT1_PT2_iii15HIP_vector_typeIjLj3EESB_SB_SB_SB_iiiiiiiiiiiDpT3_
		.amdhsa_group_segment_fixed_size 0
		.amdhsa_private_segment_fixed_size 0
		.amdhsa_kernarg_size 448
		.amdhsa_user_sgpr_count 6
		.amdhsa_user_sgpr_private_segment_buffer 1
		.amdhsa_user_sgpr_dispatch_ptr 0
		.amdhsa_user_sgpr_queue_ptr 0
		.amdhsa_user_sgpr_kernarg_segment_ptr 1
		.amdhsa_user_sgpr_dispatch_id 0
		.amdhsa_user_sgpr_flat_scratch_init 0
		.amdhsa_user_sgpr_private_segment_size 0
		.amdhsa_uses_dynamic_stack 0
		.amdhsa_system_sgpr_private_segment_wavefront_offset 0
		.amdhsa_system_sgpr_workgroup_id_x 1
		.amdhsa_system_sgpr_workgroup_id_y 1
		.amdhsa_system_sgpr_workgroup_id_z 1
		.amdhsa_system_sgpr_workgroup_info 0
		.amdhsa_system_vgpr_workitem_id 2
		.amdhsa_next_free_vgpr 33
		.amdhsa_next_free_sgpr 44
		.amdhsa_reserve_vcc 1
		.amdhsa_reserve_flat_scratch 0
		.amdhsa_float_round_mode_32 0
		.amdhsa_float_round_mode_16_64 0
		.amdhsa_float_denorm_mode_32 3
		.amdhsa_float_denorm_mode_16_64 3
		.amdhsa_dx10_clamp 1
		.amdhsa_ieee_mode 1
		.amdhsa_fp16_overflow 0
		.amdhsa_exception_fp_ieee_invalid_op 0
		.amdhsa_exception_fp_denorm_src 0
		.amdhsa_exception_fp_ieee_div_zero 0
		.amdhsa_exception_fp_ieee_overflow 0
		.amdhsa_exception_fp_ieee_underflow 0
		.amdhsa_exception_fp_ieee_inexact 0
		.amdhsa_exception_int_div_zero 0
	.end_amdhsa_kernel
	.section	.text._ZL11k_bin_bcastIXadL_ZL6op_mulffEEfffJPKfS1_S1_S1_S1_S1_EEvPKT0_PKT1_PT2_iii15HIP_vector_typeIjLj3EESB_SB_SB_SB_iiiiiiiiiiiDpT3_,"axG",@progbits,_ZL11k_bin_bcastIXadL_ZL6op_mulffEEfffJPKfS1_S1_S1_S1_S1_EEvPKT0_PKT1_PT2_iii15HIP_vector_typeIjLj3EESB_SB_SB_SB_iiiiiiiiiiiDpT3_,comdat
.Lfunc_end129:
	.size	_ZL11k_bin_bcastIXadL_ZL6op_mulffEEfffJPKfS1_S1_S1_S1_S1_EEvPKT0_PKT1_PT2_iii15HIP_vector_typeIjLj3EESB_SB_SB_SB_iiiiiiiiiiiDpT3_, .Lfunc_end129-_ZL11k_bin_bcastIXadL_ZL6op_mulffEEfffJPKfS1_S1_S1_S1_S1_EEvPKT0_PKT1_PT2_iii15HIP_vector_typeIjLj3EESB_SB_SB_SB_iiiiiiiiiiiDpT3_
                                        ; -- End function
	.set _ZL11k_bin_bcastIXadL_ZL6op_mulffEEfffJPKfS1_S1_S1_S1_S1_EEvPKT0_PKT1_PT2_iii15HIP_vector_typeIjLj3EESB_SB_SB_SB_iiiiiiiiiiiDpT3_.num_vgpr, 33
	.set _ZL11k_bin_bcastIXadL_ZL6op_mulffEEfffJPKfS1_S1_S1_S1_S1_EEvPKT0_PKT1_PT2_iii15HIP_vector_typeIjLj3EESB_SB_SB_SB_iiiiiiiiiiiDpT3_.num_agpr, 0
	.set _ZL11k_bin_bcastIXadL_ZL6op_mulffEEfffJPKfS1_S1_S1_S1_S1_EEvPKT0_PKT1_PT2_iii15HIP_vector_typeIjLj3EESB_SB_SB_SB_iiiiiiiiiiiDpT3_.numbered_sgpr, 44
	.set _ZL11k_bin_bcastIXadL_ZL6op_mulffEEfffJPKfS1_S1_S1_S1_S1_EEvPKT0_PKT1_PT2_iii15HIP_vector_typeIjLj3EESB_SB_SB_SB_iiiiiiiiiiiDpT3_.num_named_barrier, 0
	.set _ZL11k_bin_bcastIXadL_ZL6op_mulffEEfffJPKfS1_S1_S1_S1_S1_EEvPKT0_PKT1_PT2_iii15HIP_vector_typeIjLj3EESB_SB_SB_SB_iiiiiiiiiiiDpT3_.private_seg_size, 0
	.set _ZL11k_bin_bcastIXadL_ZL6op_mulffEEfffJPKfS1_S1_S1_S1_S1_EEvPKT0_PKT1_PT2_iii15HIP_vector_typeIjLj3EESB_SB_SB_SB_iiiiiiiiiiiDpT3_.uses_vcc, 1
	.set _ZL11k_bin_bcastIXadL_ZL6op_mulffEEfffJPKfS1_S1_S1_S1_S1_EEvPKT0_PKT1_PT2_iii15HIP_vector_typeIjLj3EESB_SB_SB_SB_iiiiiiiiiiiDpT3_.uses_flat_scratch, 0
	.set _ZL11k_bin_bcastIXadL_ZL6op_mulffEEfffJPKfS1_S1_S1_S1_S1_EEvPKT0_PKT1_PT2_iii15HIP_vector_typeIjLj3EESB_SB_SB_SB_iiiiiiiiiiiDpT3_.has_dyn_sized_stack, 0
	.set _ZL11k_bin_bcastIXadL_ZL6op_mulffEEfffJPKfS1_S1_S1_S1_S1_EEvPKT0_PKT1_PT2_iii15HIP_vector_typeIjLj3EESB_SB_SB_SB_iiiiiiiiiiiDpT3_.has_recursion, 0
	.set _ZL11k_bin_bcastIXadL_ZL6op_mulffEEfffJPKfS1_S1_S1_S1_S1_EEvPKT0_PKT1_PT2_iii15HIP_vector_typeIjLj3EESB_SB_SB_SB_iiiiiiiiiiiDpT3_.has_indirect_call, 0
	.section	.AMDGPU.csdata,"",@progbits
; Kernel info:
; codeLenInByte = 856
; TotalNumSgprs: 48
; NumVgprs: 33
; ScratchSize: 0
; MemoryBound: 0
; FloatMode: 240
; IeeeMode: 1
; LDSByteSize: 0 bytes/workgroup (compile time only)
; SGPRBlocks: 5
; VGPRBlocks: 8
; NumSGPRsForWavesPerEU: 48
; NumVGPRsForWavesPerEU: 33
; Occupancy: 7
; WaveLimiterHint : 1
; COMPUTE_PGM_RSRC2:SCRATCH_EN: 0
; COMPUTE_PGM_RSRC2:USER_SGPR: 6
; COMPUTE_PGM_RSRC2:TRAP_HANDLER: 0
; COMPUTE_PGM_RSRC2:TGID_X_EN: 1
; COMPUTE_PGM_RSRC2:TGID_Y_EN: 1
; COMPUTE_PGM_RSRC2:TGID_Z_EN: 1
; COMPUTE_PGM_RSRC2:TIDIG_COMP_CNT: 2
	.section	.text._ZL19k_bin_bcast_unravelIXadL_ZL6op_mulffEE6__halfS0_S0_JPKS0_S2_S2_S2_S2_S2_EEvPKT0_PKT1_PT2_15HIP_vector_typeIjLj3EESC_SC_jSC_SC_SC_SC_SC_SC_iiiiiiiiiiiDpT3_,"axG",@progbits,_ZL19k_bin_bcast_unravelIXadL_ZL6op_mulffEE6__halfS0_S0_JPKS0_S2_S2_S2_S2_S2_EEvPKT0_PKT1_PT2_15HIP_vector_typeIjLj3EESC_SC_jSC_SC_SC_SC_SC_SC_iiiiiiiiiiiDpT3_,comdat
	.globl	_ZL19k_bin_bcast_unravelIXadL_ZL6op_mulffEE6__halfS0_S0_JPKS0_S2_S2_S2_S2_S2_EEvPKT0_PKT1_PT2_15HIP_vector_typeIjLj3EESC_SC_jSC_SC_SC_SC_SC_SC_iiiiiiiiiiiDpT3_ ; -- Begin function _ZL19k_bin_bcast_unravelIXadL_ZL6op_mulffEE6__halfS0_S0_JPKS0_S2_S2_S2_S2_S2_EEvPKT0_PKT1_PT2_15HIP_vector_typeIjLj3EESC_SC_jSC_SC_SC_SC_SC_SC_iiiiiiiiiiiDpT3_
	.p2align	8
	.type	_ZL19k_bin_bcast_unravelIXadL_ZL6op_mulffEE6__halfS0_S0_JPKS0_S2_S2_S2_S2_S2_EEvPKT0_PKT1_PT2_15HIP_vector_typeIjLj3EESC_SC_jSC_SC_SC_SC_SC_SC_iiiiiiiiiiiDpT3_,@function
_ZL19k_bin_bcast_unravelIXadL_ZL6op_mulffEE6__halfS0_S0_JPKS0_S2_S2_S2_S2_S2_EEvPKT0_PKT1_PT2_15HIP_vector_typeIjLj3EESC_SC_jSC_SC_SC_SC_SC_SC_iiiiiiiiiiiDpT3_: ; @_ZL19k_bin_bcast_unravelIXadL_ZL6op_mulffEE6__halfS0_S0_JPKS0_S2_S2_S2_S2_S2_EEvPKT0_PKT1_PT2_15HIP_vector_typeIjLj3EESC_SC_jSC_SC_SC_SC_SC_SC_iiiiiiiiiiiDpT3_
; %bb.0:
	s_load_dword s0, s[4:5], 0xf4
	s_load_dwordx8 s[8:15], s[4:5], 0x38
	s_waitcnt lgkmcnt(0)
	s_and_b32 s0, s0, 0xffff
	s_mul_i32 s6, s6, s0
	v_add_u32_e32 v0, s6, v0
	v_mul_hi_u32 v1, v0, s10
	s_load_dwordx4 s[0:3], s[4:5], 0x18
	s_waitcnt lgkmcnt(0)
	s_load_dword s3, s[4:5], 0x2c
	v_add_u32_e32 v1, v0, v1
	v_lshrrev_b32_e32 v1, s11, v1
	v_mul_lo_u32 v2, v1, s12
	v_sub_u32_e32 v0, v0, v2
	v_mul_hi_u32 v2, v0, s13
	v_add_u32_e32 v2, v0, v2
	v_lshrrev_b32_e32 v3, s14, v2
	v_mul_lo_u32 v2, v3, s15
	v_cmp_gt_u32_e32 vcc, s8, v3
	v_sub_u32_e32 v0, v0, v2
	v_mul_hi_u32 v2, v0, s0
	v_add_u32_e32 v2, v0, v2
	v_lshrrev_b32_e32 v4, s1, v2
	v_mul_lo_u32 v2, v4, s2
	s_waitcnt lgkmcnt(0)
	v_cmp_gt_u32_e64 s[0:1], s3, v4
	v_sub_u32_e32 v0, v0, v2
	v_cmp_gt_u32_e64 s[2:3], s2, v0
	s_and_b64 s[0:1], s[2:3], s[0:1]
	s_and_b64 s[0:1], s[0:1], vcc
	v_cmp_gt_u32_e32 vcc, s9, v1
	s_and_b64 s[0:1], vcc, s[0:1]
	s_and_saveexec_b64 s[2:3], s[0:1]
	s_cbranch_execz .LBB130_4
; %bb.1:
	s_load_dwordx2 s[6:7], s[4:5], 0x0
	s_load_dwordx4 s[0:3], s[4:5], 0xa8
	s_load_dwordx8 s[8:15], s[4:5], 0x88
	s_load_dwordx4 s[24:27], s[4:5], 0x78
	s_load_dwordx8 s[16:23], s[4:5], 0x58
	v_mov_b32_e32 v2, 0
	s_waitcnt lgkmcnt(0)
	s_cmp_eq_u64 s[6:7], 0
	v_mov_b32_e32 v5, 0
	s_cbranch_scc1 .LBB130_3
; %bb.2:
	v_mul_lo_u32 v5, v1, s14
	v_mul_lo_u32 v7, v3, s13
	;; [unrolled: 1-line block ×3, first 2 shown]
	v_mov_b32_e32 v6, 0
	v_mov_b32_e32 v9, s7
	v_add3_u32 v5, v7, v5, v8
	v_lshlrev_b64 v[7:8], 1, v[5:6]
	v_mul_lo_u32 v5, v0, s11
	v_add_co_u32_e32 v7, vcc, s6, v7
	v_addc_co_u32_e32 v8, vcc, v9, v8, vcc
	v_lshlrev_b64 v[5:6], 1, v[5:6]
	v_add_co_u32_e32 v5, vcc, v7, v5
	v_addc_co_u32_e32 v6, vcc, v8, v6, vcc
	global_load_ushort v5, v[5:6], off
	s_waitcnt vmcnt(0)
	v_cvt_f32_f16_e32 v5, v5
.LBB130_3:
	v_mul_hi_u32 v6, s19, v4
	v_mul_hi_u32 v7, s22, v3
	;; [unrolled: 1-line block ×4, first 2 shown]
	v_add_u32_e32 v6, v4, v6
	v_add_u32_e32 v7, v3, v7
	;; [unrolled: 1-line block ×3, first 2 shown]
	v_lshrrev_b32_e32 v6, s20, v6
	v_lshrrev_b32_e32 v7, s23, v7
	;; [unrolled: 1-line block ×3, first 2 shown]
	v_mul_lo_u32 v6, v6, s21
	v_mul_lo_u32 v7, v7, s24
	;; [unrolled: 1-line block ×3, first 2 shown]
	v_add_u32_e32 v9, v0, v9
	v_sub_u32_e32 v6, v4, v6
	v_sub_u32_e32 v7, v3, v7
	;; [unrolled: 1-line block ×3, first 2 shown]
	v_lshrrev_b32_e32 v9, s17, v9
	v_mul_lo_u32 v8, v8, s2
	v_mul_lo_u32 v7, v7, s1
	;; [unrolled: 1-line block ×5, first 2 shown]
	v_add3_u32 v6, v7, v8, v6
	v_sub_u32_e32 v7, v0, v9
	v_mul_lo_u32 v7, v7, s15
	s_load_dwordx4 s[0:3], s[4:5], 0xd8
	s_load_dwordx8 s[12:19], s[4:5], 0xb8
	v_ashrrev_i32_e32 v8, 31, v6
	v_ashrrev_i32_e32 v9, 31, v7
	v_add_co_u32_e32 v6, vcc, v7, v6
	v_addc_co_u32_e32 v7, vcc, v9, v8, vcc
	v_lshlrev_b64 v[6:7], 1, v[6:7]
	s_waitcnt lgkmcnt(0)
	v_mov_b32_e32 v9, s13
	v_add_co_u32_e32 v8, vcc, s12, v6
	v_addc_co_u32_e32 v9, vcc, v9, v7, vcc
	global_load_ushort v10, v[8:9], off
	v_mov_b32_e32 v9, s15
	v_add_co_u32_e32 v8, vcc, s14, v6
	v_addc_co_u32_e32 v9, vcc, v9, v7, vcc
	global_load_ushort v11, v[8:9], off
	v_mov_b32_e32 v9, s17
	v_add_co_u32_e32 v8, vcc, s16, v6
	v_addc_co_u32_e32 v9, vcc, v9, v7, vcc
	global_load_ushort v12, v[8:9], off
	v_mov_b32_e32 v9, s19
	v_add_co_u32_e32 v8, vcc, s18, v6
	v_addc_co_u32_e32 v9, vcc, v9, v7, vcc
	global_load_ushort v13, v[8:9], off
	v_mov_b32_e32 v9, s1
	v_add_co_u32_e32 v8, vcc, s0, v6
	v_addc_co_u32_e32 v9, vcc, v9, v7, vcc
	global_load_ushort v8, v[8:9], off
	v_mov_b32_e32 v9, s3
	v_add_co_u32_e32 v6, vcc, s2, v6
	v_addc_co_u32_e32 v7, vcc, v9, v7, vcc
	global_load_ushort v6, v[6:7], off
	v_mul_lo_u32 v7, v1, s10
	v_mul_lo_u32 v9, v3, s9
	s_load_dwordx2 s[0:1], s[4:5], 0x10
	v_mov_b32_e32 v1, v2
	v_lshlrev_b64 v[3:4], 1, v[0:1]
	v_add3_u32 v1, v9, v7, v14
	v_lshlrev_b64 v[0:1], 1, v[1:2]
	s_waitcnt lgkmcnt(0)
	v_mov_b32_e32 v2, s1
	v_add_co_u32_e32 v0, vcc, s0, v0
	v_addc_co_u32_e32 v1, vcc, v2, v1, vcc
	v_add_co_u32_e32 v0, vcc, v0, v3
	v_addc_co_u32_e32 v1, vcc, v1, v4, vcc
	s_waitcnt vmcnt(5)
	v_cvt_f32_f16_e32 v2, v10
	v_mul_f32_e32 v2, v5, v2
	s_waitcnt vmcnt(4)
	v_cvt_f32_f16_e32 v7, v11
	v_mul_f32_e32 v2, v2, v7
	;; [unrolled: 3-line block ×5, first 2 shown]
	s_waitcnt vmcnt(0)
	v_fma_mixlo_f16 v2, v2, v6, 0 op_sel_hi:[0,1,0]
	global_store_short v[0:1], v2, off
.LBB130_4:
	s_endpgm
	.section	.rodata,"a",@progbits
	.p2align	6, 0x0
	.amdhsa_kernel _ZL19k_bin_bcast_unravelIXadL_ZL6op_mulffEE6__halfS0_S0_JPKS0_S2_S2_S2_S2_S2_EEvPKT0_PKT1_PT2_15HIP_vector_typeIjLj3EESC_SC_jSC_SC_SC_SC_SC_SC_iiiiiiiiiiiDpT3_
		.amdhsa_group_segment_fixed_size 0
		.amdhsa_private_segment_fixed_size 0
		.amdhsa_kernarg_size 488
		.amdhsa_user_sgpr_count 6
		.amdhsa_user_sgpr_private_segment_buffer 1
		.amdhsa_user_sgpr_dispatch_ptr 0
		.amdhsa_user_sgpr_queue_ptr 0
		.amdhsa_user_sgpr_kernarg_segment_ptr 1
		.amdhsa_user_sgpr_dispatch_id 0
		.amdhsa_user_sgpr_flat_scratch_init 0
		.amdhsa_user_sgpr_private_segment_size 0
		.amdhsa_uses_dynamic_stack 0
		.amdhsa_system_sgpr_private_segment_wavefront_offset 0
		.amdhsa_system_sgpr_workgroup_id_x 1
		.amdhsa_system_sgpr_workgroup_id_y 0
		.amdhsa_system_sgpr_workgroup_id_z 0
		.amdhsa_system_sgpr_workgroup_info 0
		.amdhsa_system_vgpr_workitem_id 0
		.amdhsa_next_free_vgpr 15
		.amdhsa_next_free_sgpr 28
		.amdhsa_reserve_vcc 1
		.amdhsa_reserve_flat_scratch 0
		.amdhsa_float_round_mode_32 0
		.amdhsa_float_round_mode_16_64 0
		.amdhsa_float_denorm_mode_32 3
		.amdhsa_float_denorm_mode_16_64 3
		.amdhsa_dx10_clamp 1
		.amdhsa_ieee_mode 1
		.amdhsa_fp16_overflow 0
		.amdhsa_exception_fp_ieee_invalid_op 0
		.amdhsa_exception_fp_denorm_src 0
		.amdhsa_exception_fp_ieee_div_zero 0
		.amdhsa_exception_fp_ieee_overflow 0
		.amdhsa_exception_fp_ieee_underflow 0
		.amdhsa_exception_fp_ieee_inexact 0
		.amdhsa_exception_int_div_zero 0
	.end_amdhsa_kernel
	.section	.text._ZL19k_bin_bcast_unravelIXadL_ZL6op_mulffEE6__halfS0_S0_JPKS0_S2_S2_S2_S2_S2_EEvPKT0_PKT1_PT2_15HIP_vector_typeIjLj3EESC_SC_jSC_SC_SC_SC_SC_SC_iiiiiiiiiiiDpT3_,"axG",@progbits,_ZL19k_bin_bcast_unravelIXadL_ZL6op_mulffEE6__halfS0_S0_JPKS0_S2_S2_S2_S2_S2_EEvPKT0_PKT1_PT2_15HIP_vector_typeIjLj3EESC_SC_jSC_SC_SC_SC_SC_SC_iiiiiiiiiiiDpT3_,comdat
.Lfunc_end130:
	.size	_ZL19k_bin_bcast_unravelIXadL_ZL6op_mulffEE6__halfS0_S0_JPKS0_S2_S2_S2_S2_S2_EEvPKT0_PKT1_PT2_15HIP_vector_typeIjLj3EESC_SC_jSC_SC_SC_SC_SC_SC_iiiiiiiiiiiDpT3_, .Lfunc_end130-_ZL19k_bin_bcast_unravelIXadL_ZL6op_mulffEE6__halfS0_S0_JPKS0_S2_S2_S2_S2_S2_EEvPKT0_PKT1_PT2_15HIP_vector_typeIjLj3EESC_SC_jSC_SC_SC_SC_SC_SC_iiiiiiiiiiiDpT3_
                                        ; -- End function
	.set _ZL19k_bin_bcast_unravelIXadL_ZL6op_mulffEE6__halfS0_S0_JPKS0_S2_S2_S2_S2_S2_EEvPKT0_PKT1_PT2_15HIP_vector_typeIjLj3EESC_SC_jSC_SC_SC_SC_SC_SC_iiiiiiiiiiiDpT3_.num_vgpr, 15
	.set _ZL19k_bin_bcast_unravelIXadL_ZL6op_mulffEE6__halfS0_S0_JPKS0_S2_S2_S2_S2_S2_EEvPKT0_PKT1_PT2_15HIP_vector_typeIjLj3EESC_SC_jSC_SC_SC_SC_SC_SC_iiiiiiiiiiiDpT3_.num_agpr, 0
	.set _ZL19k_bin_bcast_unravelIXadL_ZL6op_mulffEE6__halfS0_S0_JPKS0_S2_S2_S2_S2_S2_EEvPKT0_PKT1_PT2_15HIP_vector_typeIjLj3EESC_SC_jSC_SC_SC_SC_SC_SC_iiiiiiiiiiiDpT3_.numbered_sgpr, 28
	.set _ZL19k_bin_bcast_unravelIXadL_ZL6op_mulffEE6__halfS0_S0_JPKS0_S2_S2_S2_S2_S2_EEvPKT0_PKT1_PT2_15HIP_vector_typeIjLj3EESC_SC_jSC_SC_SC_SC_SC_SC_iiiiiiiiiiiDpT3_.num_named_barrier, 0
	.set _ZL19k_bin_bcast_unravelIXadL_ZL6op_mulffEE6__halfS0_S0_JPKS0_S2_S2_S2_S2_S2_EEvPKT0_PKT1_PT2_15HIP_vector_typeIjLj3EESC_SC_jSC_SC_SC_SC_SC_SC_iiiiiiiiiiiDpT3_.private_seg_size, 0
	.set _ZL19k_bin_bcast_unravelIXadL_ZL6op_mulffEE6__halfS0_S0_JPKS0_S2_S2_S2_S2_S2_EEvPKT0_PKT1_PT2_15HIP_vector_typeIjLj3EESC_SC_jSC_SC_SC_SC_SC_SC_iiiiiiiiiiiDpT3_.uses_vcc, 1
	.set _ZL19k_bin_bcast_unravelIXadL_ZL6op_mulffEE6__halfS0_S0_JPKS0_S2_S2_S2_S2_S2_EEvPKT0_PKT1_PT2_15HIP_vector_typeIjLj3EESC_SC_jSC_SC_SC_SC_SC_SC_iiiiiiiiiiiDpT3_.uses_flat_scratch, 0
	.set _ZL19k_bin_bcast_unravelIXadL_ZL6op_mulffEE6__halfS0_S0_JPKS0_S2_S2_S2_S2_S2_EEvPKT0_PKT1_PT2_15HIP_vector_typeIjLj3EESC_SC_jSC_SC_SC_SC_SC_SC_iiiiiiiiiiiDpT3_.has_dyn_sized_stack, 0
	.set _ZL19k_bin_bcast_unravelIXadL_ZL6op_mulffEE6__halfS0_S0_JPKS0_S2_S2_S2_S2_S2_EEvPKT0_PKT1_PT2_15HIP_vector_typeIjLj3EESC_SC_jSC_SC_SC_SC_SC_SC_iiiiiiiiiiiDpT3_.has_recursion, 0
	.set _ZL19k_bin_bcast_unravelIXadL_ZL6op_mulffEE6__halfS0_S0_JPKS0_S2_S2_S2_S2_S2_EEvPKT0_PKT1_PT2_15HIP_vector_typeIjLj3EESC_SC_jSC_SC_SC_SC_SC_SC_iiiiiiiiiiiDpT3_.has_indirect_call, 0
	.section	.AMDGPU.csdata,"",@progbits
; Kernel info:
; codeLenInByte = 828
; TotalNumSgprs: 32
; NumVgprs: 15
; ScratchSize: 0
; MemoryBound: 0
; FloatMode: 240
; IeeeMode: 1
; LDSByteSize: 0 bytes/workgroup (compile time only)
; SGPRBlocks: 3
; VGPRBlocks: 3
; NumSGPRsForWavesPerEU: 32
; NumVGPRsForWavesPerEU: 15
; Occupancy: 10
; WaveLimiterHint : 1
; COMPUTE_PGM_RSRC2:SCRATCH_EN: 0
; COMPUTE_PGM_RSRC2:USER_SGPR: 6
; COMPUTE_PGM_RSRC2:TRAP_HANDLER: 0
; COMPUTE_PGM_RSRC2:TGID_X_EN: 1
; COMPUTE_PGM_RSRC2:TGID_Y_EN: 0
; COMPUTE_PGM_RSRC2:TGID_Z_EN: 0
; COMPUTE_PGM_RSRC2:TIDIG_COMP_CNT: 0
	.section	.text._ZL11k_bin_bcastIXadL_ZL6op_mulffEE6__halfS0_S0_JPKS0_S2_S2_S2_S2_S2_EEvPKT0_PKT1_PT2_iii15HIP_vector_typeIjLj3EESC_SC_SC_SC_iiiiiiiiiiiDpT3_,"axG",@progbits,_ZL11k_bin_bcastIXadL_ZL6op_mulffEE6__halfS0_S0_JPKS0_S2_S2_S2_S2_S2_EEvPKT0_PKT1_PT2_iii15HIP_vector_typeIjLj3EESC_SC_SC_SC_iiiiiiiiiiiDpT3_,comdat
	.globl	_ZL11k_bin_bcastIXadL_ZL6op_mulffEE6__halfS0_S0_JPKS0_S2_S2_S2_S2_S2_EEvPKT0_PKT1_PT2_iii15HIP_vector_typeIjLj3EESC_SC_SC_SC_iiiiiiiiiiiDpT3_ ; -- Begin function _ZL11k_bin_bcastIXadL_ZL6op_mulffEE6__halfS0_S0_JPKS0_S2_S2_S2_S2_S2_EEvPKT0_PKT1_PT2_iii15HIP_vector_typeIjLj3EESC_SC_SC_SC_iiiiiiiiiiiDpT3_
	.p2align	8
	.type	_ZL11k_bin_bcastIXadL_ZL6op_mulffEE6__halfS0_S0_JPKS0_S2_S2_S2_S2_S2_EEvPKT0_PKT1_PT2_iii15HIP_vector_typeIjLj3EESC_SC_SC_SC_iiiiiiiiiiiDpT3_,@function
_ZL11k_bin_bcastIXadL_ZL6op_mulffEE6__halfS0_S0_JPKS0_S2_S2_S2_S2_S2_EEvPKT0_PKT1_PT2_iii15HIP_vector_typeIjLj3EESC_SC_SC_SC_iiiiiiiiiiiDpT3_: ; @_ZL11k_bin_bcastIXadL_ZL6op_mulffEE6__halfS0_S0_JPKS0_S2_S2_S2_S2_S2_EEvPKT0_PKT1_PT2_iii15HIP_vector_typeIjLj3EESC_SC_SC_SC_iiiiiiiiiiiDpT3_
; %bb.0:
	s_load_dwordx2 s[0:1], s[4:5], 0xcc
	s_load_dwordx8 s[12:19], s[4:5], 0x18
	s_add_u32 s2, s4, 0xc0
	s_addc_u32 s3, s5, 0
	s_waitcnt lgkmcnt(0)
	s_and_b32 s1, s1, 0xffff
	s_mul_i32 s8, s8, s1
	v_add_u32_e32 v3, s8, v2
	v_mul_hi_u32 v2, v3, s15
	s_lshr_b32 s1, s0, 16
	s_and_b32 s15, s0, 0xffff
	s_mul_i32 s6, s6, s15
	v_add_u32_e32 v2, v3, v2
	v_lshrrev_b32_e32 v2, s16, v2
	v_mul_lo_u32 v4, v2, s17
	s_mul_i32 s7, s7, s1
	v_add_u32_e32 v0, s6, v0
	v_add_u32_e32 v1, s7, v1
	v_cmp_gt_u32_e32 vcc, s12, v0
	v_cmp_gt_u32_e64 s[0:1], s13, v1
	v_sub_u32_e32 v3, v3, v4
	s_and_b64 s[0:1], vcc, s[0:1]
	v_cmp_gt_u32_e32 vcc, s14, v2
	s_and_b64 s[0:1], s[0:1], vcc
	v_cmp_gt_u32_e32 vcc, s17, v3
	s_and_b64 s[0:1], s[0:1], vcc
	s_and_saveexec_b64 s[6:7], s[0:1]
	s_cbranch_execz .LBB131_6
; %bb.1:
	v_cmp_gt_i32_e32 vcc, s12, v0
	s_and_b64 exec, exec, vcc
	s_cbranch_execz .LBB131_6
; %bb.2:
	s_load_dwordx8 s[36:43], s[4:5], 0x3c
	s_load_dwordx8 s[20:27], s[4:5], 0x60
	s_load_dwordx4 s[8:11], s[4:5], 0x80
	s_load_dword s6, s[2:3], 0x0
	s_load_dword s0, s[4:5], 0x5c
	s_waitcnt lgkmcnt(0)
	v_mul_hi_u32 v4, s36, v1
	v_mul_hi_u32 v5, s39, v2
	;; [unrolled: 1-line block ×3, first 2 shown]
	v_mul_lo_u32 v7, v3, s26
	v_add_u32_e32 v4, v1, v4
	v_add_u32_e32 v5, v2, v5
	v_add_u32_e32 v6, v3, v6
	v_lshrrev_b32_e32 v4, s37, v4
	v_lshrrev_b32_e32 v5, s40, v5
	;; [unrolled: 1-line block ×3, first 2 shown]
	v_mul_lo_u32 v4, v4, s38
	v_mul_lo_u32 v5, v5, s41
	;; [unrolled: 1-line block ×5, first 2 shown]
	v_sub_u32_e32 v4, v1, v4
	v_sub_u32_e32 v5, v2, v5
	;; [unrolled: 1-line block ×3, first 2 shown]
	s_load_dword s13, s[4:5], 0x38
	s_load_dwordx2 s[0:1], s[4:5], 0x0
	s_load_dwordx2 s[2:3], s[4:5], 0x10
	v_mul_lo_u32 v6, v6, s10
	v_mul_lo_u32 v5, v5, s9
	;; [unrolled: 1-line block ×6, first 2 shown]
	v_add3_u32 v1, v8, v9, v7
	v_mov_b32_e32 v2, 0
	v_mov_b32_e32 v8, v2
	v_lshlrev_b64 v[1:2], 1, v[1:2]
	v_add3_u32 v4, v5, v6, v4
	v_add3_u32 v7, v10, v11, v3
	s_waitcnt lgkmcnt(0)
	v_mov_b32_e32 v3, s1
	v_add_co_u32_e32 v5, vcc, s0, v1
	v_addc_co_u32_e32 v6, vcc, v3, v2, vcc
	v_lshlrev_b64 v[1:2], 1, v[7:8]
	s_load_dwordx4 s[8:11], s[4:5], 0xb0
	s_load_dwordx8 s[36:43], s[4:5], 0x90
	v_mov_b32_e32 v3, s3
	v_add_co_u32_e32 v7, vcc, s2, v1
	v_addc_co_u32_e32 v8, vcc, v3, v2, vcc
	s_cmp_lg_u64 s[0:1], 0
	v_mul_lo_u32 v2, s23, v0
	s_cselect_b64 s[0:1], -1, 0
	s_mul_i32 s6, s6, s15
	v_cndmask_b32_e64 v1, 0, 1, s[0:1]
	s_mov_b64 s[4:5], 0
	s_mul_i32 s7, s6, s23
	s_sub_i32 s13, 0, s13
	v_cmp_ne_u32_e64 s[0:1], 1, v1
	s_waitcnt lgkmcnt(0)
	v_mov_b32_e32 v9, s37
	v_mov_b32_e32 v10, s39
	;; [unrolled: 1-line block ×6, first 2 shown]
	s_branch .LBB131_4
.LBB131_3:                              ;   in Loop: Header=BB131_4 Depth=1
	v_mul_hi_u32 v1, s18, v0
	v_add_u32_e32 v2, s7, v2
	v_add_u32_e32 v1, v0, v1
	v_lshrrev_b32_e32 v1, s19, v1
	v_mad_u64_u32 v[15:16], s[2:3], s13, v1, v[0:1]
	v_mul_lo_u32 v1, v15, s27
	v_add_co_u32_e32 v15, vcc, v1, v4
	v_addc_co_u32_e64 v16, s[2:3], 0, 0, vcc
	v_lshlrev_b64 v[15:16], 1, v[15:16]
	v_ashrrev_i32_e32 v1, 31, v0
	v_add_co_u32_e32 v17, vcc, s36, v15
	v_addc_co_u32_e32 v18, vcc, v9, v16, vcc
	v_add_co_u32_e32 v19, vcc, s38, v15
	v_addc_co_u32_e32 v20, vcc, v10, v16, vcc
	;; [unrolled: 2-line block ×5, first 2 shown]
	global_load_ushort v27, v[17:18], off
	global_load_ushort v28, v[19:20], off
	;; [unrolled: 1-line block ×5, first 2 shown]
	v_add_co_u32_e32 v15, vcc, s10, v15
	v_addc_co_u32_e32 v16, vcc, v14, v16, vcc
	global_load_ushort v17, v[15:16], off
	v_lshlrev_b64 v[15:16], 1, v[0:1]
	v_add_u32_e32 v0, s6, v0
	v_cmp_le_i32_e32 vcc, s12, v0
	v_add_co_u32_e64 v15, s[2:3], v7, v15
	v_addc_co_u32_e64 v16, s[2:3], v8, v16, s[2:3]
	s_or_b64 s[4:5], vcc, s[4:5]
	s_waitcnt vmcnt(5)
	v_cvt_f32_f16_e32 v1, v27
	s_waitcnt vmcnt(4)
	v_cvt_f32_f16_e32 v18, v28
	;; [unrolled: 2-line block ×5, first 2 shown]
	v_mul_f32_e32 v1, v3, v1
	v_mul_f32_e32 v1, v1, v18
	;; [unrolled: 1-line block ×5, first 2 shown]
	s_waitcnt vmcnt(0)
	v_fma_mixlo_f16 v1, v1, v17, 0 op_sel_hi:[0,1,0]
	global_store_short v[15:16], v1, off
	s_andn2_b64 exec, exec, s[4:5]
	s_cbranch_execz .LBB131_6
.LBB131_4:                              ; =>This Inner Loop Header: Depth=1
	s_and_b64 vcc, exec, s[0:1]
	v_mov_b32_e32 v3, 0
	s_cbranch_vccnz .LBB131_3
; %bb.5:                                ;   in Loop: Header=BB131_4 Depth=1
	v_ashrrev_i32_e32 v3, 31, v2
	v_lshlrev_b64 v[15:16], 1, v[2:3]
	v_add_co_u32_e32 v15, vcc, v5, v15
	v_addc_co_u32_e32 v16, vcc, v6, v16, vcc
	global_load_ushort v1, v[15:16], off
	s_waitcnt vmcnt(0)
	v_cvt_f32_f16_e32 v3, v1
	s_branch .LBB131_3
.LBB131_6:
	s_endpgm
	.section	.rodata,"a",@progbits
	.p2align	6, 0x0
	.amdhsa_kernel _ZL11k_bin_bcastIXadL_ZL6op_mulffEE6__halfS0_S0_JPKS0_S2_S2_S2_S2_S2_EEvPKT0_PKT1_PT2_iii15HIP_vector_typeIjLj3EESC_SC_SC_SC_iiiiiiiiiiiDpT3_
		.amdhsa_group_segment_fixed_size 0
		.amdhsa_private_segment_fixed_size 0
		.amdhsa_kernarg_size 448
		.amdhsa_user_sgpr_count 6
		.amdhsa_user_sgpr_private_segment_buffer 1
		.amdhsa_user_sgpr_dispatch_ptr 0
		.amdhsa_user_sgpr_queue_ptr 0
		.amdhsa_user_sgpr_kernarg_segment_ptr 1
		.amdhsa_user_sgpr_dispatch_id 0
		.amdhsa_user_sgpr_flat_scratch_init 0
		.amdhsa_user_sgpr_private_segment_size 0
		.amdhsa_uses_dynamic_stack 0
		.amdhsa_system_sgpr_private_segment_wavefront_offset 0
		.amdhsa_system_sgpr_workgroup_id_x 1
		.amdhsa_system_sgpr_workgroup_id_y 1
		.amdhsa_system_sgpr_workgroup_id_z 1
		.amdhsa_system_sgpr_workgroup_info 0
		.amdhsa_system_vgpr_workitem_id 2
		.amdhsa_next_free_vgpr 32
		.amdhsa_next_free_sgpr 44
		.amdhsa_reserve_vcc 1
		.amdhsa_reserve_flat_scratch 0
		.amdhsa_float_round_mode_32 0
		.amdhsa_float_round_mode_16_64 0
		.amdhsa_float_denorm_mode_32 3
		.amdhsa_float_denorm_mode_16_64 3
		.amdhsa_dx10_clamp 1
		.amdhsa_ieee_mode 1
		.amdhsa_fp16_overflow 0
		.amdhsa_exception_fp_ieee_invalid_op 0
		.amdhsa_exception_fp_denorm_src 0
		.amdhsa_exception_fp_ieee_div_zero 0
		.amdhsa_exception_fp_ieee_overflow 0
		.amdhsa_exception_fp_ieee_underflow 0
		.amdhsa_exception_fp_ieee_inexact 0
		.amdhsa_exception_int_div_zero 0
	.end_amdhsa_kernel
	.section	.text._ZL11k_bin_bcastIXadL_ZL6op_mulffEE6__halfS0_S0_JPKS0_S2_S2_S2_S2_S2_EEvPKT0_PKT1_PT2_iii15HIP_vector_typeIjLj3EESC_SC_SC_SC_iiiiiiiiiiiDpT3_,"axG",@progbits,_ZL11k_bin_bcastIXadL_ZL6op_mulffEE6__halfS0_S0_JPKS0_S2_S2_S2_S2_S2_EEvPKT0_PKT1_PT2_iii15HIP_vector_typeIjLj3EESC_SC_SC_SC_iiiiiiiiiiiDpT3_,comdat
.Lfunc_end131:
	.size	_ZL11k_bin_bcastIXadL_ZL6op_mulffEE6__halfS0_S0_JPKS0_S2_S2_S2_S2_S2_EEvPKT0_PKT1_PT2_iii15HIP_vector_typeIjLj3EESC_SC_SC_SC_iiiiiiiiiiiDpT3_, .Lfunc_end131-_ZL11k_bin_bcastIXadL_ZL6op_mulffEE6__halfS0_S0_JPKS0_S2_S2_S2_S2_S2_EEvPKT0_PKT1_PT2_iii15HIP_vector_typeIjLj3EESC_SC_SC_SC_iiiiiiiiiiiDpT3_
                                        ; -- End function
	.set _ZL11k_bin_bcastIXadL_ZL6op_mulffEE6__halfS0_S0_JPKS0_S2_S2_S2_S2_S2_EEvPKT0_PKT1_PT2_iii15HIP_vector_typeIjLj3EESC_SC_SC_SC_iiiiiiiiiiiDpT3_.num_vgpr, 32
	.set _ZL11k_bin_bcastIXadL_ZL6op_mulffEE6__halfS0_S0_JPKS0_S2_S2_S2_S2_S2_EEvPKT0_PKT1_PT2_iii15HIP_vector_typeIjLj3EESC_SC_SC_SC_iiiiiiiiiiiDpT3_.num_agpr, 0
	.set _ZL11k_bin_bcastIXadL_ZL6op_mulffEE6__halfS0_S0_JPKS0_S2_S2_S2_S2_S2_EEvPKT0_PKT1_PT2_iii15HIP_vector_typeIjLj3EESC_SC_SC_SC_iiiiiiiiiiiDpT3_.numbered_sgpr, 44
	.set _ZL11k_bin_bcastIXadL_ZL6op_mulffEE6__halfS0_S0_JPKS0_S2_S2_S2_S2_S2_EEvPKT0_PKT1_PT2_iii15HIP_vector_typeIjLj3EESC_SC_SC_SC_iiiiiiiiiiiDpT3_.num_named_barrier, 0
	.set _ZL11k_bin_bcastIXadL_ZL6op_mulffEE6__halfS0_S0_JPKS0_S2_S2_S2_S2_S2_EEvPKT0_PKT1_PT2_iii15HIP_vector_typeIjLj3EESC_SC_SC_SC_iiiiiiiiiiiDpT3_.private_seg_size, 0
	.set _ZL11k_bin_bcastIXadL_ZL6op_mulffEE6__halfS0_S0_JPKS0_S2_S2_S2_S2_S2_EEvPKT0_PKT1_PT2_iii15HIP_vector_typeIjLj3EESC_SC_SC_SC_iiiiiiiiiiiDpT3_.uses_vcc, 1
	.set _ZL11k_bin_bcastIXadL_ZL6op_mulffEE6__halfS0_S0_JPKS0_S2_S2_S2_S2_S2_EEvPKT0_PKT1_PT2_iii15HIP_vector_typeIjLj3EESC_SC_SC_SC_iiiiiiiiiiiDpT3_.uses_flat_scratch, 0
	.set _ZL11k_bin_bcastIXadL_ZL6op_mulffEE6__halfS0_S0_JPKS0_S2_S2_S2_S2_S2_EEvPKT0_PKT1_PT2_iii15HIP_vector_typeIjLj3EESC_SC_SC_SC_iiiiiiiiiiiDpT3_.has_dyn_sized_stack, 0
	.set _ZL11k_bin_bcastIXadL_ZL6op_mulffEE6__halfS0_S0_JPKS0_S2_S2_S2_S2_S2_EEvPKT0_PKT1_PT2_iii15HIP_vector_typeIjLj3EESC_SC_SC_SC_iiiiiiiiiiiDpT3_.has_recursion, 0
	.set _ZL11k_bin_bcastIXadL_ZL6op_mulffEE6__halfS0_S0_JPKS0_S2_S2_S2_S2_S2_EEvPKT0_PKT1_PT2_iii15HIP_vector_typeIjLj3EESC_SC_SC_SC_iiiiiiiiiiiDpT3_.has_indirect_call, 0
	.section	.AMDGPU.csdata,"",@progbits
; Kernel info:
; codeLenInByte = 888
; TotalNumSgprs: 48
; NumVgprs: 32
; ScratchSize: 0
; MemoryBound: 0
; FloatMode: 240
; IeeeMode: 1
; LDSByteSize: 0 bytes/workgroup (compile time only)
; SGPRBlocks: 5
; VGPRBlocks: 7
; NumSGPRsForWavesPerEU: 48
; NumVGPRsForWavesPerEU: 32
; Occupancy: 8
; WaveLimiterHint : 1
; COMPUTE_PGM_RSRC2:SCRATCH_EN: 0
; COMPUTE_PGM_RSRC2:USER_SGPR: 6
; COMPUTE_PGM_RSRC2:TRAP_HANDLER: 0
; COMPUTE_PGM_RSRC2:TGID_X_EN: 1
; COMPUTE_PGM_RSRC2:TGID_Y_EN: 1
; COMPUTE_PGM_RSRC2:TGID_Z_EN: 1
; COMPUTE_PGM_RSRC2:TIDIG_COMP_CNT: 2
	.section	.text._ZL19k_bin_bcast_unravelIXadL_ZL6op_mulffEE6__halffS0_JPKfS2_S2_S2_S2_S2_EEvPKT0_PKT1_PT2_15HIP_vector_typeIjLj3EESC_SC_jSC_SC_SC_SC_SC_SC_iiiiiiiiiiiDpT3_,"axG",@progbits,_ZL19k_bin_bcast_unravelIXadL_ZL6op_mulffEE6__halffS0_JPKfS2_S2_S2_S2_S2_EEvPKT0_PKT1_PT2_15HIP_vector_typeIjLj3EESC_SC_jSC_SC_SC_SC_SC_SC_iiiiiiiiiiiDpT3_,comdat
	.globl	_ZL19k_bin_bcast_unravelIXadL_ZL6op_mulffEE6__halffS0_JPKfS2_S2_S2_S2_S2_EEvPKT0_PKT1_PT2_15HIP_vector_typeIjLj3EESC_SC_jSC_SC_SC_SC_SC_SC_iiiiiiiiiiiDpT3_ ; -- Begin function _ZL19k_bin_bcast_unravelIXadL_ZL6op_mulffEE6__halffS0_JPKfS2_S2_S2_S2_S2_EEvPKT0_PKT1_PT2_15HIP_vector_typeIjLj3EESC_SC_jSC_SC_SC_SC_SC_SC_iiiiiiiiiiiDpT3_
	.p2align	8
	.type	_ZL19k_bin_bcast_unravelIXadL_ZL6op_mulffEE6__halffS0_JPKfS2_S2_S2_S2_S2_EEvPKT0_PKT1_PT2_15HIP_vector_typeIjLj3EESC_SC_jSC_SC_SC_SC_SC_SC_iiiiiiiiiiiDpT3_,@function
_ZL19k_bin_bcast_unravelIXadL_ZL6op_mulffEE6__halffS0_JPKfS2_S2_S2_S2_S2_EEvPKT0_PKT1_PT2_15HIP_vector_typeIjLj3EESC_SC_jSC_SC_SC_SC_SC_SC_iiiiiiiiiiiDpT3_: ; @_ZL19k_bin_bcast_unravelIXadL_ZL6op_mulffEE6__halffS0_JPKfS2_S2_S2_S2_S2_EEvPKT0_PKT1_PT2_15HIP_vector_typeIjLj3EESC_SC_jSC_SC_SC_SC_SC_SC_iiiiiiiiiiiDpT3_
; %bb.0:
	s_load_dword s0, s[4:5], 0xf4
	s_load_dwordx8 s[8:15], s[4:5], 0x38
	s_waitcnt lgkmcnt(0)
	s_and_b32 s0, s0, 0xffff
	s_mul_i32 s6, s6, s0
	v_add_u32_e32 v0, s6, v0
	v_mul_hi_u32 v1, v0, s10
	s_load_dwordx4 s[0:3], s[4:5], 0x18
	s_waitcnt lgkmcnt(0)
	s_load_dword s3, s[4:5], 0x2c
	v_add_u32_e32 v1, v0, v1
	v_lshrrev_b32_e32 v1, s11, v1
	v_mul_lo_u32 v2, v1, s12
	v_sub_u32_e32 v0, v0, v2
	v_mul_hi_u32 v2, v0, s13
	v_add_u32_e32 v2, v0, v2
	v_lshrrev_b32_e32 v3, s14, v2
	v_mul_lo_u32 v2, v3, s15
	v_cmp_gt_u32_e32 vcc, s8, v3
	v_sub_u32_e32 v0, v0, v2
	v_mul_hi_u32 v2, v0, s0
	v_add_u32_e32 v2, v0, v2
	v_lshrrev_b32_e32 v4, s1, v2
	v_mul_lo_u32 v2, v4, s2
	s_waitcnt lgkmcnt(0)
	v_cmp_gt_u32_e64 s[0:1], s3, v4
	v_sub_u32_e32 v0, v0, v2
	v_cmp_gt_u32_e64 s[2:3], s2, v0
	s_and_b64 s[0:1], s[2:3], s[0:1]
	s_and_b64 s[0:1], s[0:1], vcc
	v_cmp_gt_u32_e32 vcc, s9, v1
	s_and_b64 s[0:1], vcc, s[0:1]
	s_and_saveexec_b64 s[2:3], s[0:1]
	s_cbranch_execz .LBB132_4
; %bb.1:
	s_load_dwordx2 s[6:7], s[4:5], 0x0
	s_load_dwordx4 s[0:3], s[4:5], 0xa8
	s_load_dwordx8 s[8:15], s[4:5], 0x88
	s_load_dwordx4 s[24:27], s[4:5], 0x78
	s_load_dwordx8 s[16:23], s[4:5], 0x58
	v_mov_b32_e32 v2, 0
	s_waitcnt lgkmcnt(0)
	s_cmp_eq_u64 s[6:7], 0
	v_mov_b32_e32 v5, 0
	s_cbranch_scc1 .LBB132_3
; %bb.2:
	v_mul_lo_u32 v5, v1, s14
	v_mul_lo_u32 v7, v3, s13
	;; [unrolled: 1-line block ×3, first 2 shown]
	v_mov_b32_e32 v6, 0
	v_mov_b32_e32 v9, s7
	v_add3_u32 v5, v7, v5, v8
	v_lshlrev_b64 v[7:8], 1, v[5:6]
	v_mul_lo_u32 v5, v0, s11
	v_add_co_u32_e32 v7, vcc, s6, v7
	v_addc_co_u32_e32 v8, vcc, v9, v8, vcc
	v_lshlrev_b64 v[5:6], 1, v[5:6]
	v_add_co_u32_e32 v5, vcc, v7, v5
	v_addc_co_u32_e32 v6, vcc, v8, v6, vcc
	global_load_ushort v5, v[5:6], off
	s_waitcnt vmcnt(0)
	v_cvt_f32_f16_e32 v5, v5
.LBB132_3:
	v_mul_hi_u32 v6, s19, v4
	v_mul_hi_u32 v7, s22, v3
	;; [unrolled: 1-line block ×4, first 2 shown]
	v_add_u32_e32 v6, v4, v6
	v_add_u32_e32 v7, v3, v7
	;; [unrolled: 1-line block ×3, first 2 shown]
	v_lshrrev_b32_e32 v6, s20, v6
	v_lshrrev_b32_e32 v7, s23, v7
	;; [unrolled: 1-line block ×3, first 2 shown]
	v_mul_lo_u32 v6, v6, s21
	v_mul_lo_u32 v7, v7, s24
	;; [unrolled: 1-line block ×3, first 2 shown]
	v_add_u32_e32 v9, v0, v9
	v_sub_u32_e32 v6, v4, v6
	v_sub_u32_e32 v7, v3, v7
	;; [unrolled: 1-line block ×3, first 2 shown]
	v_lshrrev_b32_e32 v9, s17, v9
	v_mul_lo_u32 v8, v8, s2
	v_mul_lo_u32 v7, v7, s1
	;; [unrolled: 1-line block ×5, first 2 shown]
	v_add3_u32 v6, v7, v8, v6
	v_sub_u32_e32 v7, v0, v9
	v_mul_lo_u32 v7, v7, s15
	s_load_dwordx4 s[0:3], s[4:5], 0xd8
	s_load_dwordx8 s[12:19], s[4:5], 0xb8
	v_ashrrev_i32_e32 v8, 31, v6
	v_ashrrev_i32_e32 v9, 31, v7
	v_add_co_u32_e32 v6, vcc, v7, v6
	v_addc_co_u32_e32 v7, vcc, v9, v8, vcc
	v_lshlrev_b64 v[6:7], 2, v[6:7]
	s_waitcnt lgkmcnt(0)
	v_mov_b32_e32 v9, s13
	v_add_co_u32_e32 v8, vcc, s12, v6
	v_addc_co_u32_e32 v9, vcc, v9, v7, vcc
	global_load_dword v10, v[8:9], off
	v_mov_b32_e32 v9, s15
	v_add_co_u32_e32 v8, vcc, s14, v6
	v_addc_co_u32_e32 v9, vcc, v9, v7, vcc
	global_load_dword v11, v[8:9], off
	;; [unrolled: 4-line block ×6, first 2 shown]
	v_mul_lo_u32 v7, v1, s10
	v_mul_lo_u32 v9, v3, s9
	s_load_dwordx2 s[0:1], s[4:5], 0x10
	v_mov_b32_e32 v1, v2
	v_lshlrev_b64 v[3:4], 1, v[0:1]
	v_add3_u32 v1, v9, v7, v14
	v_lshlrev_b64 v[0:1], 1, v[1:2]
	s_waitcnt lgkmcnt(0)
	v_mov_b32_e32 v2, s1
	v_add_co_u32_e32 v0, vcc, s0, v0
	v_addc_co_u32_e32 v1, vcc, v2, v1, vcc
	v_add_co_u32_e32 v0, vcc, v0, v3
	v_addc_co_u32_e32 v1, vcc, v1, v4, vcc
	s_waitcnt vmcnt(5)
	v_mul_f32_e32 v2, v5, v10
	s_waitcnt vmcnt(4)
	v_mul_f32_e32 v2, v2, v11
	;; [unrolled: 2-line block ×5, first 2 shown]
	s_waitcnt vmcnt(0)
	v_fma_mixlo_f16 v2, v2, v6, 0
	global_store_short v[0:1], v2, off
.LBB132_4:
	s_endpgm
	.section	.rodata,"a",@progbits
	.p2align	6, 0x0
	.amdhsa_kernel _ZL19k_bin_bcast_unravelIXadL_ZL6op_mulffEE6__halffS0_JPKfS2_S2_S2_S2_S2_EEvPKT0_PKT1_PT2_15HIP_vector_typeIjLj3EESC_SC_jSC_SC_SC_SC_SC_SC_iiiiiiiiiiiDpT3_
		.amdhsa_group_segment_fixed_size 0
		.amdhsa_private_segment_fixed_size 0
		.amdhsa_kernarg_size 488
		.amdhsa_user_sgpr_count 6
		.amdhsa_user_sgpr_private_segment_buffer 1
		.amdhsa_user_sgpr_dispatch_ptr 0
		.amdhsa_user_sgpr_queue_ptr 0
		.amdhsa_user_sgpr_kernarg_segment_ptr 1
		.amdhsa_user_sgpr_dispatch_id 0
		.amdhsa_user_sgpr_flat_scratch_init 0
		.amdhsa_user_sgpr_private_segment_size 0
		.amdhsa_uses_dynamic_stack 0
		.amdhsa_system_sgpr_private_segment_wavefront_offset 0
		.amdhsa_system_sgpr_workgroup_id_x 1
		.amdhsa_system_sgpr_workgroup_id_y 0
		.amdhsa_system_sgpr_workgroup_id_z 0
		.amdhsa_system_sgpr_workgroup_info 0
		.amdhsa_system_vgpr_workitem_id 0
		.amdhsa_next_free_vgpr 15
		.amdhsa_next_free_sgpr 28
		.amdhsa_reserve_vcc 1
		.amdhsa_reserve_flat_scratch 0
		.amdhsa_float_round_mode_32 0
		.amdhsa_float_round_mode_16_64 0
		.amdhsa_float_denorm_mode_32 3
		.amdhsa_float_denorm_mode_16_64 3
		.amdhsa_dx10_clamp 1
		.amdhsa_ieee_mode 1
		.amdhsa_fp16_overflow 0
		.amdhsa_exception_fp_ieee_invalid_op 0
		.amdhsa_exception_fp_denorm_src 0
		.amdhsa_exception_fp_ieee_div_zero 0
		.amdhsa_exception_fp_ieee_overflow 0
		.amdhsa_exception_fp_ieee_underflow 0
		.amdhsa_exception_fp_ieee_inexact 0
		.amdhsa_exception_int_div_zero 0
	.end_amdhsa_kernel
	.section	.text._ZL19k_bin_bcast_unravelIXadL_ZL6op_mulffEE6__halffS0_JPKfS2_S2_S2_S2_S2_EEvPKT0_PKT1_PT2_15HIP_vector_typeIjLj3EESC_SC_jSC_SC_SC_SC_SC_SC_iiiiiiiiiiiDpT3_,"axG",@progbits,_ZL19k_bin_bcast_unravelIXadL_ZL6op_mulffEE6__halffS0_JPKfS2_S2_S2_S2_S2_EEvPKT0_PKT1_PT2_15HIP_vector_typeIjLj3EESC_SC_jSC_SC_SC_SC_SC_SC_iiiiiiiiiiiDpT3_,comdat
.Lfunc_end132:
	.size	_ZL19k_bin_bcast_unravelIXadL_ZL6op_mulffEE6__halffS0_JPKfS2_S2_S2_S2_S2_EEvPKT0_PKT1_PT2_15HIP_vector_typeIjLj3EESC_SC_jSC_SC_SC_SC_SC_SC_iiiiiiiiiiiDpT3_, .Lfunc_end132-_ZL19k_bin_bcast_unravelIXadL_ZL6op_mulffEE6__halffS0_JPKfS2_S2_S2_S2_S2_EEvPKT0_PKT1_PT2_15HIP_vector_typeIjLj3EESC_SC_jSC_SC_SC_SC_SC_SC_iiiiiiiiiiiDpT3_
                                        ; -- End function
	.set _ZL19k_bin_bcast_unravelIXadL_ZL6op_mulffEE6__halffS0_JPKfS2_S2_S2_S2_S2_EEvPKT0_PKT1_PT2_15HIP_vector_typeIjLj3EESC_SC_jSC_SC_SC_SC_SC_SC_iiiiiiiiiiiDpT3_.num_vgpr, 15
	.set _ZL19k_bin_bcast_unravelIXadL_ZL6op_mulffEE6__halffS0_JPKfS2_S2_S2_S2_S2_EEvPKT0_PKT1_PT2_15HIP_vector_typeIjLj3EESC_SC_jSC_SC_SC_SC_SC_SC_iiiiiiiiiiiDpT3_.num_agpr, 0
	.set _ZL19k_bin_bcast_unravelIXadL_ZL6op_mulffEE6__halffS0_JPKfS2_S2_S2_S2_S2_EEvPKT0_PKT1_PT2_15HIP_vector_typeIjLj3EESC_SC_jSC_SC_SC_SC_SC_SC_iiiiiiiiiiiDpT3_.numbered_sgpr, 28
	.set _ZL19k_bin_bcast_unravelIXadL_ZL6op_mulffEE6__halffS0_JPKfS2_S2_S2_S2_S2_EEvPKT0_PKT1_PT2_15HIP_vector_typeIjLj3EESC_SC_jSC_SC_SC_SC_SC_SC_iiiiiiiiiiiDpT3_.num_named_barrier, 0
	.set _ZL19k_bin_bcast_unravelIXadL_ZL6op_mulffEE6__halffS0_JPKfS2_S2_S2_S2_S2_EEvPKT0_PKT1_PT2_15HIP_vector_typeIjLj3EESC_SC_jSC_SC_SC_SC_SC_SC_iiiiiiiiiiiDpT3_.private_seg_size, 0
	.set _ZL19k_bin_bcast_unravelIXadL_ZL6op_mulffEE6__halffS0_JPKfS2_S2_S2_S2_S2_EEvPKT0_PKT1_PT2_15HIP_vector_typeIjLj3EESC_SC_jSC_SC_SC_SC_SC_SC_iiiiiiiiiiiDpT3_.uses_vcc, 1
	.set _ZL19k_bin_bcast_unravelIXadL_ZL6op_mulffEE6__halffS0_JPKfS2_S2_S2_S2_S2_EEvPKT0_PKT1_PT2_15HIP_vector_typeIjLj3EESC_SC_jSC_SC_SC_SC_SC_SC_iiiiiiiiiiiDpT3_.uses_flat_scratch, 0
	.set _ZL19k_bin_bcast_unravelIXadL_ZL6op_mulffEE6__halffS0_JPKfS2_S2_S2_S2_S2_EEvPKT0_PKT1_PT2_15HIP_vector_typeIjLj3EESC_SC_jSC_SC_SC_SC_SC_SC_iiiiiiiiiiiDpT3_.has_dyn_sized_stack, 0
	.set _ZL19k_bin_bcast_unravelIXadL_ZL6op_mulffEE6__halffS0_JPKfS2_S2_S2_S2_S2_EEvPKT0_PKT1_PT2_15HIP_vector_typeIjLj3EESC_SC_jSC_SC_SC_SC_SC_SC_iiiiiiiiiiiDpT3_.has_recursion, 0
	.set _ZL19k_bin_bcast_unravelIXadL_ZL6op_mulffEE6__halffS0_JPKfS2_S2_S2_S2_S2_EEvPKT0_PKT1_PT2_15HIP_vector_typeIjLj3EESC_SC_jSC_SC_SC_SC_SC_SC_iiiiiiiiiiiDpT3_.has_indirect_call, 0
	.section	.AMDGPU.csdata,"",@progbits
; Kernel info:
; codeLenInByte = 808
; TotalNumSgprs: 32
; NumVgprs: 15
; ScratchSize: 0
; MemoryBound: 0
; FloatMode: 240
; IeeeMode: 1
; LDSByteSize: 0 bytes/workgroup (compile time only)
; SGPRBlocks: 3
; VGPRBlocks: 3
; NumSGPRsForWavesPerEU: 32
; NumVGPRsForWavesPerEU: 15
; Occupancy: 10
; WaveLimiterHint : 1
; COMPUTE_PGM_RSRC2:SCRATCH_EN: 0
; COMPUTE_PGM_RSRC2:USER_SGPR: 6
; COMPUTE_PGM_RSRC2:TRAP_HANDLER: 0
; COMPUTE_PGM_RSRC2:TGID_X_EN: 1
; COMPUTE_PGM_RSRC2:TGID_Y_EN: 0
; COMPUTE_PGM_RSRC2:TGID_Z_EN: 0
; COMPUTE_PGM_RSRC2:TIDIG_COMP_CNT: 0
	.section	.text._ZL11k_bin_bcastIXadL_ZL6op_mulffEE6__halffS0_JPKfS2_S2_S2_S2_S2_EEvPKT0_PKT1_PT2_iii15HIP_vector_typeIjLj3EESC_SC_SC_SC_iiiiiiiiiiiDpT3_,"axG",@progbits,_ZL11k_bin_bcastIXadL_ZL6op_mulffEE6__halffS0_JPKfS2_S2_S2_S2_S2_EEvPKT0_PKT1_PT2_iii15HIP_vector_typeIjLj3EESC_SC_SC_SC_iiiiiiiiiiiDpT3_,comdat
	.globl	_ZL11k_bin_bcastIXadL_ZL6op_mulffEE6__halffS0_JPKfS2_S2_S2_S2_S2_EEvPKT0_PKT1_PT2_iii15HIP_vector_typeIjLj3EESC_SC_SC_SC_iiiiiiiiiiiDpT3_ ; -- Begin function _ZL11k_bin_bcastIXadL_ZL6op_mulffEE6__halffS0_JPKfS2_S2_S2_S2_S2_EEvPKT0_PKT1_PT2_iii15HIP_vector_typeIjLj3EESC_SC_SC_SC_iiiiiiiiiiiDpT3_
	.p2align	8
	.type	_ZL11k_bin_bcastIXadL_ZL6op_mulffEE6__halffS0_JPKfS2_S2_S2_S2_S2_EEvPKT0_PKT1_PT2_iii15HIP_vector_typeIjLj3EESC_SC_SC_SC_iiiiiiiiiiiDpT3_,@function
_ZL11k_bin_bcastIXadL_ZL6op_mulffEE6__halffS0_JPKfS2_S2_S2_S2_S2_EEvPKT0_PKT1_PT2_iii15HIP_vector_typeIjLj3EESC_SC_SC_SC_iiiiiiiiiiiDpT3_: ; @_ZL11k_bin_bcastIXadL_ZL6op_mulffEE6__halffS0_JPKfS2_S2_S2_S2_S2_EEvPKT0_PKT1_PT2_iii15HIP_vector_typeIjLj3EESC_SC_SC_SC_iiiiiiiiiiiDpT3_
; %bb.0:
	s_load_dwordx2 s[0:1], s[4:5], 0xcc
	s_load_dwordx8 s[12:19], s[4:5], 0x18
	s_add_u32 s2, s4, 0xc0
	s_addc_u32 s3, s5, 0
	s_waitcnt lgkmcnt(0)
	s_and_b32 s1, s1, 0xffff
	s_mul_i32 s8, s8, s1
	v_add_u32_e32 v3, s8, v2
	v_mul_hi_u32 v2, v3, s15
	s_lshr_b32 s1, s0, 16
	s_and_b32 s15, s0, 0xffff
	s_mul_i32 s6, s6, s15
	v_add_u32_e32 v2, v3, v2
	v_lshrrev_b32_e32 v2, s16, v2
	v_mul_lo_u32 v4, v2, s17
	s_mul_i32 s7, s7, s1
	v_add_u32_e32 v0, s6, v0
	v_add_u32_e32 v1, s7, v1
	v_cmp_gt_u32_e32 vcc, s12, v0
	v_cmp_gt_u32_e64 s[0:1], s13, v1
	v_sub_u32_e32 v3, v3, v4
	s_and_b64 s[0:1], vcc, s[0:1]
	v_cmp_gt_u32_e32 vcc, s14, v2
	s_and_b64 s[0:1], s[0:1], vcc
	v_cmp_gt_u32_e32 vcc, s17, v3
	s_and_b64 s[0:1], s[0:1], vcc
	s_and_saveexec_b64 s[6:7], s[0:1]
	s_cbranch_execz .LBB133_6
; %bb.1:
	v_cmp_gt_i32_e32 vcc, s12, v0
	s_and_b64 exec, exec, vcc
	s_cbranch_execz .LBB133_6
; %bb.2:
	s_load_dwordx8 s[36:43], s[4:5], 0x3c
	s_load_dwordx8 s[20:27], s[4:5], 0x60
	s_load_dwordx4 s[8:11], s[4:5], 0x80
	s_load_dword s6, s[2:3], 0x0
	s_load_dword s0, s[4:5], 0x5c
	s_waitcnt lgkmcnt(0)
	v_mul_hi_u32 v4, s36, v1
	v_mul_hi_u32 v5, s39, v2
	;; [unrolled: 1-line block ×3, first 2 shown]
	v_mul_lo_u32 v7, v3, s26
	v_add_u32_e32 v4, v1, v4
	v_add_u32_e32 v5, v2, v5
	;; [unrolled: 1-line block ×3, first 2 shown]
	v_lshrrev_b32_e32 v4, s37, v4
	v_lshrrev_b32_e32 v5, s40, v5
	;; [unrolled: 1-line block ×3, first 2 shown]
	v_mul_lo_u32 v4, v4, s38
	v_mul_lo_u32 v5, v5, s41
	;; [unrolled: 1-line block ×5, first 2 shown]
	v_sub_u32_e32 v4, v1, v4
	v_sub_u32_e32 v5, v2, v5
	;; [unrolled: 1-line block ×3, first 2 shown]
	s_load_dword s13, s[4:5], 0x38
	s_load_dwordx2 s[0:1], s[4:5], 0x0
	s_load_dwordx2 s[2:3], s[4:5], 0x10
	v_mul_lo_u32 v6, v6, s10
	v_mul_lo_u32 v5, v5, s9
	;; [unrolled: 1-line block ×6, first 2 shown]
	v_add3_u32 v1, v8, v9, v7
	v_mov_b32_e32 v2, 0
	v_mov_b32_e32 v8, v2
	v_lshlrev_b64 v[1:2], 1, v[1:2]
	v_add3_u32 v4, v5, v6, v4
	v_add3_u32 v7, v10, v11, v3
	s_waitcnt lgkmcnt(0)
	v_mov_b32_e32 v3, s1
	v_add_co_u32_e32 v5, vcc, s0, v1
	v_addc_co_u32_e32 v6, vcc, v3, v2, vcc
	v_lshlrev_b64 v[1:2], 1, v[7:8]
	s_load_dwordx4 s[8:11], s[4:5], 0xb0
	s_load_dwordx8 s[36:43], s[4:5], 0x90
	v_mov_b32_e32 v3, s3
	v_add_co_u32_e32 v7, vcc, s2, v1
	v_addc_co_u32_e32 v8, vcc, v3, v2, vcc
	s_cmp_lg_u64 s[0:1], 0
	v_mul_lo_u32 v2, s23, v0
	s_cselect_b64 s[0:1], -1, 0
	s_mul_i32 s6, s6, s15
	v_cndmask_b32_e64 v1, 0, 1, s[0:1]
	s_mov_b64 s[4:5], 0
	s_mul_i32 s7, s6, s23
	s_sub_i32 s13, 0, s13
	v_cmp_ne_u32_e64 s[0:1], 1, v1
	s_waitcnt lgkmcnt(0)
	v_mov_b32_e32 v9, s37
	v_mov_b32_e32 v10, s39
	v_mov_b32_e32 v11, s41
	v_mov_b32_e32 v12, s43
	v_mov_b32_e32 v13, s9
	v_mov_b32_e32 v14, s11
	s_branch .LBB133_4
.LBB133_3:                              ;   in Loop: Header=BB133_4 Depth=1
	v_mul_hi_u32 v1, s18, v0
	v_add_u32_e32 v2, s7, v2
	v_add_u32_e32 v1, v0, v1
	v_lshrrev_b32_e32 v1, s19, v1
	v_mad_u64_u32 v[15:16], s[2:3], s13, v1, v[0:1]
	v_mul_lo_u32 v1, v15, s27
	v_add_co_u32_e32 v15, vcc, v1, v4
	v_addc_co_u32_e64 v16, s[2:3], 0, 0, vcc
	v_lshlrev_b64 v[15:16], 2, v[15:16]
	v_ashrrev_i32_e32 v1, 31, v0
	v_add_co_u32_e32 v17, vcc, s36, v15
	v_addc_co_u32_e32 v18, vcc, v9, v16, vcc
	v_add_co_u32_e32 v19, vcc, s38, v15
	v_addc_co_u32_e32 v20, vcc, v10, v16, vcc
	;; [unrolled: 2-line block ×6, first 2 shown]
	global_load_dword v27, v[17:18], off
	global_load_dword v28, v[19:20], off
	;; [unrolled: 1-line block ×6, first 2 shown]
	v_lshlrev_b64 v[15:16], 1, v[0:1]
	v_add_u32_e32 v0, s6, v0
	v_cmp_le_i32_e32 vcc, s12, v0
	v_add_co_u32_e64 v15, s[2:3], v7, v15
	v_addc_co_u32_e64 v16, s[2:3], v8, v16, s[2:3]
	s_or_b64 s[4:5], vcc, s[4:5]
	s_waitcnt vmcnt(5)
	v_mul_f32_e32 v1, v3, v27
	s_waitcnt vmcnt(4)
	v_mul_f32_e32 v1, v1, v28
	s_waitcnt vmcnt(3)
	v_mul_f32_e32 v1, v1, v29
	s_waitcnt vmcnt(2)
	v_mul_f32_e32 v1, v1, v30
	s_waitcnt vmcnt(1)
	v_mul_f32_e32 v1, v1, v31
	s_waitcnt vmcnt(0)
	v_fma_mixlo_f16 v1, v1, v32, 0
	global_store_short v[15:16], v1, off
	s_andn2_b64 exec, exec, s[4:5]
	s_cbranch_execz .LBB133_6
.LBB133_4:                              ; =>This Inner Loop Header: Depth=1
	s_and_b64 vcc, exec, s[0:1]
	v_mov_b32_e32 v3, 0
	s_cbranch_vccnz .LBB133_3
; %bb.5:                                ;   in Loop: Header=BB133_4 Depth=1
	v_ashrrev_i32_e32 v3, 31, v2
	v_lshlrev_b64 v[15:16], 1, v[2:3]
	v_add_co_u32_e32 v15, vcc, v5, v15
	v_addc_co_u32_e32 v16, vcc, v6, v16, vcc
	global_load_ushort v1, v[15:16], off
	s_waitcnt vmcnt(0)
	v_cvt_f32_f16_e32 v3, v1
	s_branch .LBB133_3
.LBB133_6:
	s_endpgm
	.section	.rodata,"a",@progbits
	.p2align	6, 0x0
	.amdhsa_kernel _ZL11k_bin_bcastIXadL_ZL6op_mulffEE6__halffS0_JPKfS2_S2_S2_S2_S2_EEvPKT0_PKT1_PT2_iii15HIP_vector_typeIjLj3EESC_SC_SC_SC_iiiiiiiiiiiDpT3_
		.amdhsa_group_segment_fixed_size 0
		.amdhsa_private_segment_fixed_size 0
		.amdhsa_kernarg_size 448
		.amdhsa_user_sgpr_count 6
		.amdhsa_user_sgpr_private_segment_buffer 1
		.amdhsa_user_sgpr_dispatch_ptr 0
		.amdhsa_user_sgpr_queue_ptr 0
		.amdhsa_user_sgpr_kernarg_segment_ptr 1
		.amdhsa_user_sgpr_dispatch_id 0
		.amdhsa_user_sgpr_flat_scratch_init 0
		.amdhsa_user_sgpr_private_segment_size 0
		.amdhsa_uses_dynamic_stack 0
		.amdhsa_system_sgpr_private_segment_wavefront_offset 0
		.amdhsa_system_sgpr_workgroup_id_x 1
		.amdhsa_system_sgpr_workgroup_id_y 1
		.amdhsa_system_sgpr_workgroup_id_z 1
		.amdhsa_system_sgpr_workgroup_info 0
		.amdhsa_system_vgpr_workitem_id 2
		.amdhsa_next_free_vgpr 33
		.amdhsa_next_free_sgpr 44
		.amdhsa_reserve_vcc 1
		.amdhsa_reserve_flat_scratch 0
		.amdhsa_float_round_mode_32 0
		.amdhsa_float_round_mode_16_64 0
		.amdhsa_float_denorm_mode_32 3
		.amdhsa_float_denorm_mode_16_64 3
		.amdhsa_dx10_clamp 1
		.amdhsa_ieee_mode 1
		.amdhsa_fp16_overflow 0
		.amdhsa_exception_fp_ieee_invalid_op 0
		.amdhsa_exception_fp_denorm_src 0
		.amdhsa_exception_fp_ieee_div_zero 0
		.amdhsa_exception_fp_ieee_overflow 0
		.amdhsa_exception_fp_ieee_underflow 0
		.amdhsa_exception_fp_ieee_inexact 0
		.amdhsa_exception_int_div_zero 0
	.end_amdhsa_kernel
	.section	.text._ZL11k_bin_bcastIXadL_ZL6op_mulffEE6__halffS0_JPKfS2_S2_S2_S2_S2_EEvPKT0_PKT1_PT2_iii15HIP_vector_typeIjLj3EESC_SC_SC_SC_iiiiiiiiiiiDpT3_,"axG",@progbits,_ZL11k_bin_bcastIXadL_ZL6op_mulffEE6__halffS0_JPKfS2_S2_S2_S2_S2_EEvPKT0_PKT1_PT2_iii15HIP_vector_typeIjLj3EESC_SC_SC_SC_iiiiiiiiiiiDpT3_,comdat
.Lfunc_end133:
	.size	_ZL11k_bin_bcastIXadL_ZL6op_mulffEE6__halffS0_JPKfS2_S2_S2_S2_S2_EEvPKT0_PKT1_PT2_iii15HIP_vector_typeIjLj3EESC_SC_SC_SC_iiiiiiiiiiiDpT3_, .Lfunc_end133-_ZL11k_bin_bcastIXadL_ZL6op_mulffEE6__halffS0_JPKfS2_S2_S2_S2_S2_EEvPKT0_PKT1_PT2_iii15HIP_vector_typeIjLj3EESC_SC_SC_SC_iiiiiiiiiiiDpT3_
                                        ; -- End function
	.set _ZL11k_bin_bcastIXadL_ZL6op_mulffEE6__halffS0_JPKfS2_S2_S2_S2_S2_EEvPKT0_PKT1_PT2_iii15HIP_vector_typeIjLj3EESC_SC_SC_SC_iiiiiiiiiiiDpT3_.num_vgpr, 33
	.set _ZL11k_bin_bcastIXadL_ZL6op_mulffEE6__halffS0_JPKfS2_S2_S2_S2_S2_EEvPKT0_PKT1_PT2_iii15HIP_vector_typeIjLj3EESC_SC_SC_SC_iiiiiiiiiiiDpT3_.num_agpr, 0
	.set _ZL11k_bin_bcastIXadL_ZL6op_mulffEE6__halffS0_JPKfS2_S2_S2_S2_S2_EEvPKT0_PKT1_PT2_iii15HIP_vector_typeIjLj3EESC_SC_SC_SC_iiiiiiiiiiiDpT3_.numbered_sgpr, 44
	.set _ZL11k_bin_bcastIXadL_ZL6op_mulffEE6__halffS0_JPKfS2_S2_S2_S2_S2_EEvPKT0_PKT1_PT2_iii15HIP_vector_typeIjLj3EESC_SC_SC_SC_iiiiiiiiiiiDpT3_.num_named_barrier, 0
	.set _ZL11k_bin_bcastIXadL_ZL6op_mulffEE6__halffS0_JPKfS2_S2_S2_S2_S2_EEvPKT0_PKT1_PT2_iii15HIP_vector_typeIjLj3EESC_SC_SC_SC_iiiiiiiiiiiDpT3_.private_seg_size, 0
	.set _ZL11k_bin_bcastIXadL_ZL6op_mulffEE6__halffS0_JPKfS2_S2_S2_S2_S2_EEvPKT0_PKT1_PT2_iii15HIP_vector_typeIjLj3EESC_SC_SC_SC_iiiiiiiiiiiDpT3_.uses_vcc, 1
	.set _ZL11k_bin_bcastIXadL_ZL6op_mulffEE6__halffS0_JPKfS2_S2_S2_S2_S2_EEvPKT0_PKT1_PT2_iii15HIP_vector_typeIjLj3EESC_SC_SC_SC_iiiiiiiiiiiDpT3_.uses_flat_scratch, 0
	.set _ZL11k_bin_bcastIXadL_ZL6op_mulffEE6__halffS0_JPKfS2_S2_S2_S2_S2_EEvPKT0_PKT1_PT2_iii15HIP_vector_typeIjLj3EESC_SC_SC_SC_iiiiiiiiiiiDpT3_.has_dyn_sized_stack, 0
	.set _ZL11k_bin_bcastIXadL_ZL6op_mulffEE6__halffS0_JPKfS2_S2_S2_S2_S2_EEvPKT0_PKT1_PT2_iii15HIP_vector_typeIjLj3EESC_SC_SC_SC_iiiiiiiiiiiDpT3_.has_recursion, 0
	.set _ZL11k_bin_bcastIXadL_ZL6op_mulffEE6__halffS0_JPKfS2_S2_S2_S2_S2_EEvPKT0_PKT1_PT2_iii15HIP_vector_typeIjLj3EESC_SC_SC_SC_iiiiiiiiiiiDpT3_.has_indirect_call, 0
	.section	.AMDGPU.csdata,"",@progbits
; Kernel info:
; codeLenInByte = 868
; TotalNumSgprs: 48
; NumVgprs: 33
; ScratchSize: 0
; MemoryBound: 0
; FloatMode: 240
; IeeeMode: 1
; LDSByteSize: 0 bytes/workgroup (compile time only)
; SGPRBlocks: 5
; VGPRBlocks: 8
; NumSGPRsForWavesPerEU: 48
; NumVGPRsForWavesPerEU: 33
; Occupancy: 7
; WaveLimiterHint : 1
; COMPUTE_PGM_RSRC2:SCRATCH_EN: 0
; COMPUTE_PGM_RSRC2:USER_SGPR: 6
; COMPUTE_PGM_RSRC2:TRAP_HANDLER: 0
; COMPUTE_PGM_RSRC2:TGID_X_EN: 1
; COMPUTE_PGM_RSRC2:TGID_Y_EN: 1
; COMPUTE_PGM_RSRC2:TGID_Z_EN: 1
; COMPUTE_PGM_RSRC2:TIDIG_COMP_CNT: 2
	.section	.text._ZL19k_bin_bcast_unravelIXadL_ZL6op_mulffEE6__halfffJPKfS2_S2_S2_S2_S2_EEvPKT0_PKT1_PT2_15HIP_vector_typeIjLj3EESC_SC_jSC_SC_SC_SC_SC_SC_iiiiiiiiiiiDpT3_,"axG",@progbits,_ZL19k_bin_bcast_unravelIXadL_ZL6op_mulffEE6__halfffJPKfS2_S2_S2_S2_S2_EEvPKT0_PKT1_PT2_15HIP_vector_typeIjLj3EESC_SC_jSC_SC_SC_SC_SC_SC_iiiiiiiiiiiDpT3_,comdat
	.globl	_ZL19k_bin_bcast_unravelIXadL_ZL6op_mulffEE6__halfffJPKfS2_S2_S2_S2_S2_EEvPKT0_PKT1_PT2_15HIP_vector_typeIjLj3EESC_SC_jSC_SC_SC_SC_SC_SC_iiiiiiiiiiiDpT3_ ; -- Begin function _ZL19k_bin_bcast_unravelIXadL_ZL6op_mulffEE6__halfffJPKfS2_S2_S2_S2_S2_EEvPKT0_PKT1_PT2_15HIP_vector_typeIjLj3EESC_SC_jSC_SC_SC_SC_SC_SC_iiiiiiiiiiiDpT3_
	.p2align	8
	.type	_ZL19k_bin_bcast_unravelIXadL_ZL6op_mulffEE6__halfffJPKfS2_S2_S2_S2_S2_EEvPKT0_PKT1_PT2_15HIP_vector_typeIjLj3EESC_SC_jSC_SC_SC_SC_SC_SC_iiiiiiiiiiiDpT3_,@function
_ZL19k_bin_bcast_unravelIXadL_ZL6op_mulffEE6__halfffJPKfS2_S2_S2_S2_S2_EEvPKT0_PKT1_PT2_15HIP_vector_typeIjLj3EESC_SC_jSC_SC_SC_SC_SC_SC_iiiiiiiiiiiDpT3_: ; @_ZL19k_bin_bcast_unravelIXadL_ZL6op_mulffEE6__halfffJPKfS2_S2_S2_S2_S2_EEvPKT0_PKT1_PT2_15HIP_vector_typeIjLj3EESC_SC_jSC_SC_SC_SC_SC_SC_iiiiiiiiiiiDpT3_
; %bb.0:
	s_load_dword s0, s[4:5], 0xf4
	s_load_dwordx8 s[8:15], s[4:5], 0x38
	s_waitcnt lgkmcnt(0)
	s_and_b32 s0, s0, 0xffff
	s_mul_i32 s6, s6, s0
	v_add_u32_e32 v0, s6, v0
	v_mul_hi_u32 v1, v0, s10
	s_load_dwordx4 s[0:3], s[4:5], 0x18
	s_waitcnt lgkmcnt(0)
	s_load_dword s3, s[4:5], 0x2c
	v_add_u32_e32 v1, v0, v1
	v_lshrrev_b32_e32 v1, s11, v1
	v_mul_lo_u32 v2, v1, s12
	v_sub_u32_e32 v0, v0, v2
	v_mul_hi_u32 v2, v0, s13
	v_add_u32_e32 v2, v0, v2
	v_lshrrev_b32_e32 v3, s14, v2
	v_mul_lo_u32 v2, v3, s15
	v_cmp_gt_u32_e32 vcc, s8, v3
	v_sub_u32_e32 v0, v0, v2
	v_mul_hi_u32 v2, v0, s0
	v_add_u32_e32 v2, v0, v2
	v_lshrrev_b32_e32 v4, s1, v2
	v_mul_lo_u32 v2, v4, s2
	s_waitcnt lgkmcnt(0)
	v_cmp_gt_u32_e64 s[0:1], s3, v4
	v_sub_u32_e32 v0, v0, v2
	v_cmp_gt_u32_e64 s[2:3], s2, v0
	s_and_b64 s[0:1], s[2:3], s[0:1]
	s_and_b64 s[0:1], s[0:1], vcc
	v_cmp_gt_u32_e32 vcc, s9, v1
	s_and_b64 s[0:1], vcc, s[0:1]
	s_and_saveexec_b64 s[2:3], s[0:1]
	s_cbranch_execz .LBB134_4
; %bb.1:
	s_load_dwordx2 s[6:7], s[4:5], 0x0
	s_load_dwordx4 s[0:3], s[4:5], 0xa8
	s_load_dwordx8 s[8:15], s[4:5], 0x88
	s_load_dwordx4 s[24:27], s[4:5], 0x78
	s_load_dwordx8 s[16:23], s[4:5], 0x58
	v_mov_b32_e32 v2, 0
	s_waitcnt lgkmcnt(0)
	s_cmp_eq_u64 s[6:7], 0
	v_mov_b32_e32 v5, 0
	s_cbranch_scc1 .LBB134_3
; %bb.2:
	v_mul_lo_u32 v5, v1, s14
	v_mul_lo_u32 v7, v3, s13
	;; [unrolled: 1-line block ×3, first 2 shown]
	v_mov_b32_e32 v6, 0
	v_mov_b32_e32 v9, s7
	v_add3_u32 v5, v7, v5, v8
	v_lshlrev_b64 v[7:8], 1, v[5:6]
	v_mul_lo_u32 v5, v0, s11
	v_add_co_u32_e32 v7, vcc, s6, v7
	v_addc_co_u32_e32 v8, vcc, v9, v8, vcc
	v_lshlrev_b64 v[5:6], 1, v[5:6]
	v_add_co_u32_e32 v5, vcc, v7, v5
	v_addc_co_u32_e32 v6, vcc, v8, v6, vcc
	global_load_ushort v5, v[5:6], off
	s_waitcnt vmcnt(0)
	v_cvt_f32_f16_e32 v5, v5
.LBB134_3:
	v_mul_hi_u32 v6, s19, v4
	v_mul_hi_u32 v7, s22, v3
	v_mul_hi_u32 v8, s25, v1
	v_mul_hi_u32 v9, s16, v0
	v_add_u32_e32 v6, v4, v6
	v_add_u32_e32 v7, v3, v7
	;; [unrolled: 1-line block ×3, first 2 shown]
	v_lshrrev_b32_e32 v6, s20, v6
	v_lshrrev_b32_e32 v7, s23, v7
	;; [unrolled: 1-line block ×3, first 2 shown]
	v_mul_lo_u32 v6, v6, s21
	v_mul_lo_u32 v7, v7, s24
	;; [unrolled: 1-line block ×3, first 2 shown]
	v_add_u32_e32 v9, v0, v9
	v_sub_u32_e32 v6, v4, v6
	v_sub_u32_e32 v7, v3, v7
	;; [unrolled: 1-line block ×3, first 2 shown]
	v_lshrrev_b32_e32 v9, s17, v9
	v_mul_lo_u32 v8, v8, s2
	v_mul_lo_u32 v7, v7, s1
	;; [unrolled: 1-line block ×5, first 2 shown]
	v_add3_u32 v6, v7, v8, v6
	v_sub_u32_e32 v7, v0, v9
	v_mul_lo_u32 v7, v7, s15
	s_load_dwordx4 s[0:3], s[4:5], 0xd8
	s_load_dwordx8 s[12:19], s[4:5], 0xb8
	v_ashrrev_i32_e32 v8, 31, v6
	v_ashrrev_i32_e32 v9, 31, v7
	v_add_co_u32_e32 v6, vcc, v7, v6
	v_addc_co_u32_e32 v7, vcc, v9, v8, vcc
	v_lshlrev_b64 v[6:7], 2, v[6:7]
	s_waitcnt lgkmcnt(0)
	v_mov_b32_e32 v9, s13
	v_add_co_u32_e32 v8, vcc, s12, v6
	v_addc_co_u32_e32 v9, vcc, v9, v7, vcc
	global_load_dword v10, v[8:9], off
	v_mov_b32_e32 v9, s15
	v_add_co_u32_e32 v8, vcc, s14, v6
	v_addc_co_u32_e32 v9, vcc, v9, v7, vcc
	global_load_dword v11, v[8:9], off
	v_mov_b32_e32 v9, s17
	v_add_co_u32_e32 v8, vcc, s16, v6
	v_addc_co_u32_e32 v9, vcc, v9, v7, vcc
	global_load_dword v12, v[8:9], off
	v_mov_b32_e32 v9, s19
	v_add_co_u32_e32 v8, vcc, s18, v6
	v_addc_co_u32_e32 v9, vcc, v9, v7, vcc
	global_load_dword v13, v[8:9], off
	v_mov_b32_e32 v9, s1
	v_add_co_u32_e32 v8, vcc, s0, v6
	v_addc_co_u32_e32 v9, vcc, v9, v7, vcc
	global_load_dword v8, v[8:9], off
	v_mov_b32_e32 v9, s3
	v_add_co_u32_e32 v6, vcc, s2, v6
	v_addc_co_u32_e32 v7, vcc, v9, v7, vcc
	global_load_dword v6, v[6:7], off
	v_mul_lo_u32 v7, v1, s10
	v_mul_lo_u32 v9, v3, s9
	s_load_dwordx2 s[0:1], s[4:5], 0x10
	v_mov_b32_e32 v1, v2
	v_lshlrev_b64 v[3:4], 2, v[0:1]
	v_add3_u32 v1, v9, v7, v14
	v_lshlrev_b64 v[0:1], 2, v[1:2]
	s_waitcnt lgkmcnt(0)
	v_mov_b32_e32 v2, s1
	v_add_co_u32_e32 v0, vcc, s0, v0
	v_addc_co_u32_e32 v1, vcc, v2, v1, vcc
	v_add_co_u32_e32 v0, vcc, v0, v3
	v_addc_co_u32_e32 v1, vcc, v1, v4, vcc
	s_waitcnt vmcnt(5)
	v_mul_f32_e32 v2, v5, v10
	s_waitcnt vmcnt(4)
	v_mul_f32_e32 v2, v2, v11
	;; [unrolled: 2-line block ×6, first 2 shown]
	global_store_dword v[0:1], v2, off
.LBB134_4:
	s_endpgm
	.section	.rodata,"a",@progbits
	.p2align	6, 0x0
	.amdhsa_kernel _ZL19k_bin_bcast_unravelIXadL_ZL6op_mulffEE6__halfffJPKfS2_S2_S2_S2_S2_EEvPKT0_PKT1_PT2_15HIP_vector_typeIjLj3EESC_SC_jSC_SC_SC_SC_SC_SC_iiiiiiiiiiiDpT3_
		.amdhsa_group_segment_fixed_size 0
		.amdhsa_private_segment_fixed_size 0
		.amdhsa_kernarg_size 488
		.amdhsa_user_sgpr_count 6
		.amdhsa_user_sgpr_private_segment_buffer 1
		.amdhsa_user_sgpr_dispatch_ptr 0
		.amdhsa_user_sgpr_queue_ptr 0
		.amdhsa_user_sgpr_kernarg_segment_ptr 1
		.amdhsa_user_sgpr_dispatch_id 0
		.amdhsa_user_sgpr_flat_scratch_init 0
		.amdhsa_user_sgpr_private_segment_size 0
		.amdhsa_uses_dynamic_stack 0
		.amdhsa_system_sgpr_private_segment_wavefront_offset 0
		.amdhsa_system_sgpr_workgroup_id_x 1
		.amdhsa_system_sgpr_workgroup_id_y 0
		.amdhsa_system_sgpr_workgroup_id_z 0
		.amdhsa_system_sgpr_workgroup_info 0
		.amdhsa_system_vgpr_workitem_id 0
		.amdhsa_next_free_vgpr 15
		.amdhsa_next_free_sgpr 28
		.amdhsa_reserve_vcc 1
		.amdhsa_reserve_flat_scratch 0
		.amdhsa_float_round_mode_32 0
		.amdhsa_float_round_mode_16_64 0
		.amdhsa_float_denorm_mode_32 3
		.amdhsa_float_denorm_mode_16_64 3
		.amdhsa_dx10_clamp 1
		.amdhsa_ieee_mode 1
		.amdhsa_fp16_overflow 0
		.amdhsa_exception_fp_ieee_invalid_op 0
		.amdhsa_exception_fp_denorm_src 0
		.amdhsa_exception_fp_ieee_div_zero 0
		.amdhsa_exception_fp_ieee_overflow 0
		.amdhsa_exception_fp_ieee_underflow 0
		.amdhsa_exception_fp_ieee_inexact 0
		.amdhsa_exception_int_div_zero 0
	.end_amdhsa_kernel
	.section	.text._ZL19k_bin_bcast_unravelIXadL_ZL6op_mulffEE6__halfffJPKfS2_S2_S2_S2_S2_EEvPKT0_PKT1_PT2_15HIP_vector_typeIjLj3EESC_SC_jSC_SC_SC_SC_SC_SC_iiiiiiiiiiiDpT3_,"axG",@progbits,_ZL19k_bin_bcast_unravelIXadL_ZL6op_mulffEE6__halfffJPKfS2_S2_S2_S2_S2_EEvPKT0_PKT1_PT2_15HIP_vector_typeIjLj3EESC_SC_jSC_SC_SC_SC_SC_SC_iiiiiiiiiiiDpT3_,comdat
.Lfunc_end134:
	.size	_ZL19k_bin_bcast_unravelIXadL_ZL6op_mulffEE6__halfffJPKfS2_S2_S2_S2_S2_EEvPKT0_PKT1_PT2_15HIP_vector_typeIjLj3EESC_SC_jSC_SC_SC_SC_SC_SC_iiiiiiiiiiiDpT3_, .Lfunc_end134-_ZL19k_bin_bcast_unravelIXadL_ZL6op_mulffEE6__halfffJPKfS2_S2_S2_S2_S2_EEvPKT0_PKT1_PT2_15HIP_vector_typeIjLj3EESC_SC_jSC_SC_SC_SC_SC_SC_iiiiiiiiiiiDpT3_
                                        ; -- End function
	.set _ZL19k_bin_bcast_unravelIXadL_ZL6op_mulffEE6__halfffJPKfS2_S2_S2_S2_S2_EEvPKT0_PKT1_PT2_15HIP_vector_typeIjLj3EESC_SC_jSC_SC_SC_SC_SC_SC_iiiiiiiiiiiDpT3_.num_vgpr, 15
	.set _ZL19k_bin_bcast_unravelIXadL_ZL6op_mulffEE6__halfffJPKfS2_S2_S2_S2_S2_EEvPKT0_PKT1_PT2_15HIP_vector_typeIjLj3EESC_SC_jSC_SC_SC_SC_SC_SC_iiiiiiiiiiiDpT3_.num_agpr, 0
	.set _ZL19k_bin_bcast_unravelIXadL_ZL6op_mulffEE6__halfffJPKfS2_S2_S2_S2_S2_EEvPKT0_PKT1_PT2_15HIP_vector_typeIjLj3EESC_SC_jSC_SC_SC_SC_SC_SC_iiiiiiiiiiiDpT3_.numbered_sgpr, 28
	.set _ZL19k_bin_bcast_unravelIXadL_ZL6op_mulffEE6__halfffJPKfS2_S2_S2_S2_S2_EEvPKT0_PKT1_PT2_15HIP_vector_typeIjLj3EESC_SC_jSC_SC_SC_SC_SC_SC_iiiiiiiiiiiDpT3_.num_named_barrier, 0
	.set _ZL19k_bin_bcast_unravelIXadL_ZL6op_mulffEE6__halfffJPKfS2_S2_S2_S2_S2_EEvPKT0_PKT1_PT2_15HIP_vector_typeIjLj3EESC_SC_jSC_SC_SC_SC_SC_SC_iiiiiiiiiiiDpT3_.private_seg_size, 0
	.set _ZL19k_bin_bcast_unravelIXadL_ZL6op_mulffEE6__halfffJPKfS2_S2_S2_S2_S2_EEvPKT0_PKT1_PT2_15HIP_vector_typeIjLj3EESC_SC_jSC_SC_SC_SC_SC_SC_iiiiiiiiiiiDpT3_.uses_vcc, 1
	.set _ZL19k_bin_bcast_unravelIXadL_ZL6op_mulffEE6__halfffJPKfS2_S2_S2_S2_S2_EEvPKT0_PKT1_PT2_15HIP_vector_typeIjLj3EESC_SC_jSC_SC_SC_SC_SC_SC_iiiiiiiiiiiDpT3_.uses_flat_scratch, 0
	.set _ZL19k_bin_bcast_unravelIXadL_ZL6op_mulffEE6__halfffJPKfS2_S2_S2_S2_S2_EEvPKT0_PKT1_PT2_15HIP_vector_typeIjLj3EESC_SC_jSC_SC_SC_SC_SC_SC_iiiiiiiiiiiDpT3_.has_dyn_sized_stack, 0
	.set _ZL19k_bin_bcast_unravelIXadL_ZL6op_mulffEE6__halfffJPKfS2_S2_S2_S2_S2_EEvPKT0_PKT1_PT2_15HIP_vector_typeIjLj3EESC_SC_jSC_SC_SC_SC_SC_SC_iiiiiiiiiiiDpT3_.has_recursion, 0
	.set _ZL19k_bin_bcast_unravelIXadL_ZL6op_mulffEE6__halfffJPKfS2_S2_S2_S2_S2_EEvPKT0_PKT1_PT2_15HIP_vector_typeIjLj3EESC_SC_jSC_SC_SC_SC_SC_SC_iiiiiiiiiiiDpT3_.has_indirect_call, 0
	.section	.AMDGPU.csdata,"",@progbits
; Kernel info:
; codeLenInByte = 804
; TotalNumSgprs: 32
; NumVgprs: 15
; ScratchSize: 0
; MemoryBound: 0
; FloatMode: 240
; IeeeMode: 1
; LDSByteSize: 0 bytes/workgroup (compile time only)
; SGPRBlocks: 3
; VGPRBlocks: 3
; NumSGPRsForWavesPerEU: 32
; NumVGPRsForWavesPerEU: 15
; Occupancy: 10
; WaveLimiterHint : 1
; COMPUTE_PGM_RSRC2:SCRATCH_EN: 0
; COMPUTE_PGM_RSRC2:USER_SGPR: 6
; COMPUTE_PGM_RSRC2:TRAP_HANDLER: 0
; COMPUTE_PGM_RSRC2:TGID_X_EN: 1
; COMPUTE_PGM_RSRC2:TGID_Y_EN: 0
; COMPUTE_PGM_RSRC2:TGID_Z_EN: 0
; COMPUTE_PGM_RSRC2:TIDIG_COMP_CNT: 0
	.section	.text._ZL11k_bin_bcastIXadL_ZL6op_mulffEE6__halfffJPKfS2_S2_S2_S2_S2_EEvPKT0_PKT1_PT2_iii15HIP_vector_typeIjLj3EESC_SC_SC_SC_iiiiiiiiiiiDpT3_,"axG",@progbits,_ZL11k_bin_bcastIXadL_ZL6op_mulffEE6__halfffJPKfS2_S2_S2_S2_S2_EEvPKT0_PKT1_PT2_iii15HIP_vector_typeIjLj3EESC_SC_SC_SC_iiiiiiiiiiiDpT3_,comdat
	.globl	_ZL11k_bin_bcastIXadL_ZL6op_mulffEE6__halfffJPKfS2_S2_S2_S2_S2_EEvPKT0_PKT1_PT2_iii15HIP_vector_typeIjLj3EESC_SC_SC_SC_iiiiiiiiiiiDpT3_ ; -- Begin function _ZL11k_bin_bcastIXadL_ZL6op_mulffEE6__halfffJPKfS2_S2_S2_S2_S2_EEvPKT0_PKT1_PT2_iii15HIP_vector_typeIjLj3EESC_SC_SC_SC_iiiiiiiiiiiDpT3_
	.p2align	8
	.type	_ZL11k_bin_bcastIXadL_ZL6op_mulffEE6__halfffJPKfS2_S2_S2_S2_S2_EEvPKT0_PKT1_PT2_iii15HIP_vector_typeIjLj3EESC_SC_SC_SC_iiiiiiiiiiiDpT3_,@function
_ZL11k_bin_bcastIXadL_ZL6op_mulffEE6__halfffJPKfS2_S2_S2_S2_S2_EEvPKT0_PKT1_PT2_iii15HIP_vector_typeIjLj3EESC_SC_SC_SC_iiiiiiiiiiiDpT3_: ; @_ZL11k_bin_bcastIXadL_ZL6op_mulffEE6__halfffJPKfS2_S2_S2_S2_S2_EEvPKT0_PKT1_PT2_iii15HIP_vector_typeIjLj3EESC_SC_SC_SC_iiiiiiiiiiiDpT3_
; %bb.0:
	s_load_dwordx2 s[0:1], s[4:5], 0xcc
	s_load_dwordx8 s[12:19], s[4:5], 0x18
	s_add_u32 s2, s4, 0xc0
	s_addc_u32 s3, s5, 0
	s_waitcnt lgkmcnt(0)
	s_and_b32 s1, s1, 0xffff
	s_mul_i32 s8, s8, s1
	v_add_u32_e32 v3, s8, v2
	v_mul_hi_u32 v2, v3, s15
	s_lshr_b32 s1, s0, 16
	s_and_b32 s15, s0, 0xffff
	s_mul_i32 s6, s6, s15
	v_add_u32_e32 v2, v3, v2
	v_lshrrev_b32_e32 v2, s16, v2
	v_mul_lo_u32 v4, v2, s17
	s_mul_i32 s7, s7, s1
	v_add_u32_e32 v0, s6, v0
	v_add_u32_e32 v1, s7, v1
	v_cmp_gt_u32_e32 vcc, s12, v0
	v_cmp_gt_u32_e64 s[0:1], s13, v1
	v_sub_u32_e32 v3, v3, v4
	s_and_b64 s[0:1], vcc, s[0:1]
	v_cmp_gt_u32_e32 vcc, s14, v2
	s_and_b64 s[0:1], s[0:1], vcc
	v_cmp_gt_u32_e32 vcc, s17, v3
	s_and_b64 s[0:1], s[0:1], vcc
	s_and_saveexec_b64 s[6:7], s[0:1]
	s_cbranch_execz .LBB135_6
; %bb.1:
	v_cmp_gt_i32_e32 vcc, s12, v0
	s_and_b64 exec, exec, vcc
	s_cbranch_execz .LBB135_6
; %bb.2:
	s_load_dwordx8 s[36:43], s[4:5], 0x3c
	s_load_dwordx8 s[20:27], s[4:5], 0x60
	s_load_dwordx4 s[8:11], s[4:5], 0x80
	s_load_dword s6, s[2:3], 0x0
	s_load_dword s0, s[4:5], 0x5c
	s_waitcnt lgkmcnt(0)
	v_mul_hi_u32 v4, s36, v1
	v_mul_hi_u32 v5, s39, v2
	;; [unrolled: 1-line block ×3, first 2 shown]
	v_mul_lo_u32 v7, v3, s26
	v_add_u32_e32 v4, v1, v4
	v_add_u32_e32 v5, v2, v5
	;; [unrolled: 1-line block ×3, first 2 shown]
	v_lshrrev_b32_e32 v4, s37, v4
	v_lshrrev_b32_e32 v5, s40, v5
	;; [unrolled: 1-line block ×3, first 2 shown]
	v_mul_lo_u32 v4, v4, s38
	v_mul_lo_u32 v5, v5, s41
	;; [unrolled: 1-line block ×5, first 2 shown]
	v_sub_u32_e32 v4, v1, v4
	v_sub_u32_e32 v5, v2, v5
	;; [unrolled: 1-line block ×3, first 2 shown]
	s_load_dword s13, s[4:5], 0x38
	s_load_dwordx2 s[0:1], s[4:5], 0x0
	s_load_dwordx2 s[2:3], s[4:5], 0x10
	v_mul_lo_u32 v6, v6, s10
	v_mul_lo_u32 v5, v5, s9
	;; [unrolled: 1-line block ×6, first 2 shown]
	v_add3_u32 v1, v8, v9, v7
	v_mov_b32_e32 v2, 0
	v_mov_b32_e32 v8, v2
	v_lshlrev_b64 v[1:2], 1, v[1:2]
	v_add3_u32 v4, v5, v6, v4
	v_add3_u32 v7, v10, v11, v3
	s_waitcnt lgkmcnt(0)
	v_mov_b32_e32 v3, s1
	v_add_co_u32_e32 v5, vcc, s0, v1
	v_addc_co_u32_e32 v6, vcc, v3, v2, vcc
	v_lshlrev_b64 v[1:2], 2, v[7:8]
	s_load_dwordx4 s[8:11], s[4:5], 0xb0
	s_load_dwordx8 s[36:43], s[4:5], 0x90
	v_mov_b32_e32 v3, s3
	v_add_co_u32_e32 v7, vcc, s2, v1
	v_addc_co_u32_e32 v8, vcc, v3, v2, vcc
	s_cmp_lg_u64 s[0:1], 0
	v_mul_lo_u32 v2, s23, v0
	s_cselect_b64 s[0:1], -1, 0
	s_mul_i32 s6, s6, s15
	v_cndmask_b32_e64 v1, 0, 1, s[0:1]
	s_mov_b64 s[4:5], 0
	s_mul_i32 s7, s6, s23
	s_sub_i32 s13, 0, s13
	v_cmp_ne_u32_e64 s[0:1], 1, v1
	s_waitcnt lgkmcnt(0)
	v_mov_b32_e32 v9, s37
	v_mov_b32_e32 v10, s39
	v_mov_b32_e32 v11, s41
	v_mov_b32_e32 v12, s43
	v_mov_b32_e32 v13, s9
	v_mov_b32_e32 v14, s11
	s_branch .LBB135_4
.LBB135_3:                              ;   in Loop: Header=BB135_4 Depth=1
	v_mul_hi_u32 v1, s18, v0
	v_add_u32_e32 v2, s7, v2
	v_add_u32_e32 v1, v0, v1
	v_lshrrev_b32_e32 v1, s19, v1
	v_mad_u64_u32 v[15:16], s[2:3], s13, v1, v[0:1]
	v_mul_lo_u32 v1, v15, s27
	v_add_co_u32_e32 v15, vcc, v1, v4
	v_addc_co_u32_e64 v16, s[2:3], 0, 0, vcc
	v_lshlrev_b64 v[15:16], 2, v[15:16]
	v_ashrrev_i32_e32 v1, 31, v0
	v_add_co_u32_e32 v17, vcc, s36, v15
	v_addc_co_u32_e32 v18, vcc, v9, v16, vcc
	v_add_co_u32_e32 v19, vcc, s38, v15
	v_addc_co_u32_e32 v20, vcc, v10, v16, vcc
	;; [unrolled: 2-line block ×6, first 2 shown]
	global_load_dword v27, v[17:18], off
	global_load_dword v28, v[19:20], off
	global_load_dword v29, v[21:22], off
	global_load_dword v30, v[23:24], off
	global_load_dword v31, v[25:26], off
	global_load_dword v32, v[15:16], off
	v_lshlrev_b64 v[15:16], 2, v[0:1]
	v_add_u32_e32 v0, s6, v0
	v_cmp_le_i32_e32 vcc, s12, v0
	v_add_co_u32_e64 v15, s[2:3], v7, v15
	v_addc_co_u32_e64 v16, s[2:3], v8, v16, s[2:3]
	s_or_b64 s[4:5], vcc, s[4:5]
	s_waitcnt vmcnt(5)
	v_mul_f32_e32 v1, v3, v27
	s_waitcnt vmcnt(4)
	v_mul_f32_e32 v1, v1, v28
	;; [unrolled: 2-line block ×6, first 2 shown]
	global_store_dword v[15:16], v1, off
	s_andn2_b64 exec, exec, s[4:5]
	s_cbranch_execz .LBB135_6
.LBB135_4:                              ; =>This Inner Loop Header: Depth=1
	s_and_b64 vcc, exec, s[0:1]
	v_mov_b32_e32 v3, 0
	s_cbranch_vccnz .LBB135_3
; %bb.5:                                ;   in Loop: Header=BB135_4 Depth=1
	v_ashrrev_i32_e32 v3, 31, v2
	v_lshlrev_b64 v[15:16], 1, v[2:3]
	v_add_co_u32_e32 v15, vcc, v5, v15
	v_addc_co_u32_e32 v16, vcc, v6, v16, vcc
	global_load_ushort v1, v[15:16], off
	s_waitcnt vmcnt(0)
	v_cvt_f32_f16_e32 v3, v1
	s_branch .LBB135_3
.LBB135_6:
	s_endpgm
	.section	.rodata,"a",@progbits
	.p2align	6, 0x0
	.amdhsa_kernel _ZL11k_bin_bcastIXadL_ZL6op_mulffEE6__halfffJPKfS2_S2_S2_S2_S2_EEvPKT0_PKT1_PT2_iii15HIP_vector_typeIjLj3EESC_SC_SC_SC_iiiiiiiiiiiDpT3_
		.amdhsa_group_segment_fixed_size 0
		.amdhsa_private_segment_fixed_size 0
		.amdhsa_kernarg_size 448
		.amdhsa_user_sgpr_count 6
		.amdhsa_user_sgpr_private_segment_buffer 1
		.amdhsa_user_sgpr_dispatch_ptr 0
		.amdhsa_user_sgpr_queue_ptr 0
		.amdhsa_user_sgpr_kernarg_segment_ptr 1
		.amdhsa_user_sgpr_dispatch_id 0
		.amdhsa_user_sgpr_flat_scratch_init 0
		.amdhsa_user_sgpr_private_segment_size 0
		.amdhsa_uses_dynamic_stack 0
		.amdhsa_system_sgpr_private_segment_wavefront_offset 0
		.amdhsa_system_sgpr_workgroup_id_x 1
		.amdhsa_system_sgpr_workgroup_id_y 1
		.amdhsa_system_sgpr_workgroup_id_z 1
		.amdhsa_system_sgpr_workgroup_info 0
		.amdhsa_system_vgpr_workitem_id 2
		.amdhsa_next_free_vgpr 33
		.amdhsa_next_free_sgpr 44
		.amdhsa_reserve_vcc 1
		.amdhsa_reserve_flat_scratch 0
		.amdhsa_float_round_mode_32 0
		.amdhsa_float_round_mode_16_64 0
		.amdhsa_float_denorm_mode_32 3
		.amdhsa_float_denorm_mode_16_64 3
		.amdhsa_dx10_clamp 1
		.amdhsa_ieee_mode 1
		.amdhsa_fp16_overflow 0
		.amdhsa_exception_fp_ieee_invalid_op 0
		.amdhsa_exception_fp_denorm_src 0
		.amdhsa_exception_fp_ieee_div_zero 0
		.amdhsa_exception_fp_ieee_overflow 0
		.amdhsa_exception_fp_ieee_underflow 0
		.amdhsa_exception_fp_ieee_inexact 0
		.amdhsa_exception_int_div_zero 0
	.end_amdhsa_kernel
	.section	.text._ZL11k_bin_bcastIXadL_ZL6op_mulffEE6__halfffJPKfS2_S2_S2_S2_S2_EEvPKT0_PKT1_PT2_iii15HIP_vector_typeIjLj3EESC_SC_SC_SC_iiiiiiiiiiiDpT3_,"axG",@progbits,_ZL11k_bin_bcastIXadL_ZL6op_mulffEE6__halfffJPKfS2_S2_S2_S2_S2_EEvPKT0_PKT1_PT2_iii15HIP_vector_typeIjLj3EESC_SC_SC_SC_iiiiiiiiiiiDpT3_,comdat
.Lfunc_end135:
	.size	_ZL11k_bin_bcastIXadL_ZL6op_mulffEE6__halfffJPKfS2_S2_S2_S2_S2_EEvPKT0_PKT1_PT2_iii15HIP_vector_typeIjLj3EESC_SC_SC_SC_iiiiiiiiiiiDpT3_, .Lfunc_end135-_ZL11k_bin_bcastIXadL_ZL6op_mulffEE6__halfffJPKfS2_S2_S2_S2_S2_EEvPKT0_PKT1_PT2_iii15HIP_vector_typeIjLj3EESC_SC_SC_SC_iiiiiiiiiiiDpT3_
                                        ; -- End function
	.set _ZL11k_bin_bcastIXadL_ZL6op_mulffEE6__halfffJPKfS2_S2_S2_S2_S2_EEvPKT0_PKT1_PT2_iii15HIP_vector_typeIjLj3EESC_SC_SC_SC_iiiiiiiiiiiDpT3_.num_vgpr, 33
	.set _ZL11k_bin_bcastIXadL_ZL6op_mulffEE6__halfffJPKfS2_S2_S2_S2_S2_EEvPKT0_PKT1_PT2_iii15HIP_vector_typeIjLj3EESC_SC_SC_SC_iiiiiiiiiiiDpT3_.num_agpr, 0
	.set _ZL11k_bin_bcastIXadL_ZL6op_mulffEE6__halfffJPKfS2_S2_S2_S2_S2_EEvPKT0_PKT1_PT2_iii15HIP_vector_typeIjLj3EESC_SC_SC_SC_iiiiiiiiiiiDpT3_.numbered_sgpr, 44
	.set _ZL11k_bin_bcastIXadL_ZL6op_mulffEE6__halfffJPKfS2_S2_S2_S2_S2_EEvPKT0_PKT1_PT2_iii15HIP_vector_typeIjLj3EESC_SC_SC_SC_iiiiiiiiiiiDpT3_.num_named_barrier, 0
	.set _ZL11k_bin_bcastIXadL_ZL6op_mulffEE6__halfffJPKfS2_S2_S2_S2_S2_EEvPKT0_PKT1_PT2_iii15HIP_vector_typeIjLj3EESC_SC_SC_SC_iiiiiiiiiiiDpT3_.private_seg_size, 0
	.set _ZL11k_bin_bcastIXadL_ZL6op_mulffEE6__halfffJPKfS2_S2_S2_S2_S2_EEvPKT0_PKT1_PT2_iii15HIP_vector_typeIjLj3EESC_SC_SC_SC_iiiiiiiiiiiDpT3_.uses_vcc, 1
	.set _ZL11k_bin_bcastIXadL_ZL6op_mulffEE6__halfffJPKfS2_S2_S2_S2_S2_EEvPKT0_PKT1_PT2_iii15HIP_vector_typeIjLj3EESC_SC_SC_SC_iiiiiiiiiiiDpT3_.uses_flat_scratch, 0
	.set _ZL11k_bin_bcastIXadL_ZL6op_mulffEE6__halfffJPKfS2_S2_S2_S2_S2_EEvPKT0_PKT1_PT2_iii15HIP_vector_typeIjLj3EESC_SC_SC_SC_iiiiiiiiiiiDpT3_.has_dyn_sized_stack, 0
	.set _ZL11k_bin_bcastIXadL_ZL6op_mulffEE6__halfffJPKfS2_S2_S2_S2_S2_EEvPKT0_PKT1_PT2_iii15HIP_vector_typeIjLj3EESC_SC_SC_SC_iiiiiiiiiiiDpT3_.has_recursion, 0
	.set _ZL11k_bin_bcastIXadL_ZL6op_mulffEE6__halfffJPKfS2_S2_S2_S2_S2_EEvPKT0_PKT1_PT2_iii15HIP_vector_typeIjLj3EESC_SC_SC_SC_iiiiiiiiiiiDpT3_.has_indirect_call, 0
	.section	.AMDGPU.csdata,"",@progbits
; Kernel info:
; codeLenInByte = 864
; TotalNumSgprs: 48
; NumVgprs: 33
; ScratchSize: 0
; MemoryBound: 0
; FloatMode: 240
; IeeeMode: 1
; LDSByteSize: 0 bytes/workgroup (compile time only)
; SGPRBlocks: 5
; VGPRBlocks: 8
; NumSGPRsForWavesPerEU: 48
; NumVGPRsForWavesPerEU: 33
; Occupancy: 7
; WaveLimiterHint : 1
; COMPUTE_PGM_RSRC2:SCRATCH_EN: 0
; COMPUTE_PGM_RSRC2:USER_SGPR: 6
; COMPUTE_PGM_RSRC2:TRAP_HANDLER: 0
; COMPUTE_PGM_RSRC2:TGID_X_EN: 1
; COMPUTE_PGM_RSRC2:TGID_Y_EN: 1
; COMPUTE_PGM_RSRC2:TGID_Z_EN: 1
; COMPUTE_PGM_RSRC2:TIDIG_COMP_CNT: 2
	.section	.text._ZL19k_bin_bcast_unravelIXadL_ZL6op_mulffEEfffJPKfS1_S1_S1_S1_S1_S1_EEvPKT0_PKT1_PT2_15HIP_vector_typeIjLj3EESB_SB_jSB_SB_SB_SB_SB_SB_iiiiiiiiiiiDpT3_,"axG",@progbits,_ZL19k_bin_bcast_unravelIXadL_ZL6op_mulffEEfffJPKfS1_S1_S1_S1_S1_S1_EEvPKT0_PKT1_PT2_15HIP_vector_typeIjLj3EESB_SB_jSB_SB_SB_SB_SB_SB_iiiiiiiiiiiDpT3_,comdat
	.globl	_ZL19k_bin_bcast_unravelIXadL_ZL6op_mulffEEfffJPKfS1_S1_S1_S1_S1_S1_EEvPKT0_PKT1_PT2_15HIP_vector_typeIjLj3EESB_SB_jSB_SB_SB_SB_SB_SB_iiiiiiiiiiiDpT3_ ; -- Begin function _ZL19k_bin_bcast_unravelIXadL_ZL6op_mulffEEfffJPKfS1_S1_S1_S1_S1_S1_EEvPKT0_PKT1_PT2_15HIP_vector_typeIjLj3EESB_SB_jSB_SB_SB_SB_SB_SB_iiiiiiiiiiiDpT3_
	.p2align	8
	.type	_ZL19k_bin_bcast_unravelIXadL_ZL6op_mulffEEfffJPKfS1_S1_S1_S1_S1_S1_EEvPKT0_PKT1_PT2_15HIP_vector_typeIjLj3EESB_SB_jSB_SB_SB_SB_SB_SB_iiiiiiiiiiiDpT3_,@function
_ZL19k_bin_bcast_unravelIXadL_ZL6op_mulffEEfffJPKfS1_S1_S1_S1_S1_S1_EEvPKT0_PKT1_PT2_15HIP_vector_typeIjLj3EESB_SB_jSB_SB_SB_SB_SB_SB_iiiiiiiiiiiDpT3_: ; @_ZL19k_bin_bcast_unravelIXadL_ZL6op_mulffEEfffJPKfS1_S1_S1_S1_S1_S1_EEvPKT0_PKT1_PT2_15HIP_vector_typeIjLj3EESB_SB_jSB_SB_SB_SB_SB_SB_iiiiiiiiiiiDpT3_
; %bb.0:
	s_load_dword s0, s[4:5], 0xfc
	s_load_dwordx8 s[8:15], s[4:5], 0x38
	s_waitcnt lgkmcnt(0)
	s_and_b32 s0, s0, 0xffff
	s_mul_i32 s6, s6, s0
	v_add_u32_e32 v0, s6, v0
	v_mul_hi_u32 v1, v0, s10
	s_load_dwordx4 s[0:3], s[4:5], 0x18
	s_waitcnt lgkmcnt(0)
	s_load_dword s3, s[4:5], 0x2c
	v_add_u32_e32 v1, v0, v1
	v_lshrrev_b32_e32 v1, s11, v1
	v_mul_lo_u32 v2, v1, s12
	v_sub_u32_e32 v0, v0, v2
	v_mul_hi_u32 v2, v0, s13
	v_add_u32_e32 v2, v0, v2
	v_lshrrev_b32_e32 v3, s14, v2
	v_mul_lo_u32 v2, v3, s15
	v_cmp_gt_u32_e32 vcc, s8, v3
	v_sub_u32_e32 v0, v0, v2
	v_mul_hi_u32 v2, v0, s0
	v_add_u32_e32 v2, v0, v2
	v_lshrrev_b32_e32 v4, s1, v2
	v_mul_lo_u32 v2, v4, s2
	s_waitcnt lgkmcnt(0)
	v_cmp_gt_u32_e64 s[0:1], s3, v4
	v_sub_u32_e32 v0, v0, v2
	v_cmp_gt_u32_e64 s[2:3], s2, v0
	s_and_b64 s[0:1], s[2:3], s[0:1]
	s_and_b64 s[0:1], s[0:1], vcc
	v_cmp_gt_u32_e32 vcc, s9, v1
	s_and_b64 s[0:1], vcc, s[0:1]
	s_and_saveexec_b64 s[2:3], s[0:1]
	s_cbranch_execz .LBB136_4
; %bb.1:
	s_load_dwordx2 s[6:7], s[4:5], 0x0
	s_load_dwordx4 s[0:3], s[4:5], 0xa8
	s_load_dwordx8 s[8:15], s[4:5], 0x88
	s_load_dwordx4 s[24:27], s[4:5], 0x78
	s_load_dwordx8 s[16:23], s[4:5], 0x58
	v_mov_b32_e32 v2, 0
	s_waitcnt lgkmcnt(0)
	s_cmp_eq_u64 s[6:7], 0
	v_mov_b32_e32 v5, 0
	s_cbranch_scc1 .LBB136_3
; %bb.2:
	v_mul_lo_u32 v5, v1, s14
	v_mul_lo_u32 v7, v3, s13
	;; [unrolled: 1-line block ×3, first 2 shown]
	v_mov_b32_e32 v6, 0
	v_mov_b32_e32 v9, s7
	v_add3_u32 v5, v7, v5, v8
	v_lshlrev_b64 v[7:8], 2, v[5:6]
	v_mul_lo_u32 v5, v0, s11
	v_add_co_u32_e32 v7, vcc, s6, v7
	v_addc_co_u32_e32 v8, vcc, v9, v8, vcc
	v_lshlrev_b64 v[5:6], 2, v[5:6]
	v_add_co_u32_e32 v5, vcc, v7, v5
	v_addc_co_u32_e32 v6, vcc, v8, v6, vcc
	global_load_dword v5, v[5:6], off
.LBB136_3:
	v_mul_hi_u32 v6, s19, v4
	v_mul_hi_u32 v7, s22, v3
	;; [unrolled: 1-line block ×4, first 2 shown]
	v_add_u32_e32 v6, v4, v6
	v_add_u32_e32 v7, v3, v7
	;; [unrolled: 1-line block ×3, first 2 shown]
	v_lshrrev_b32_e32 v6, s20, v6
	v_lshrrev_b32_e32 v7, s23, v7
	;; [unrolled: 1-line block ×3, first 2 shown]
	v_mul_lo_u32 v6, v6, s21
	v_mul_lo_u32 v7, v7, s24
	;; [unrolled: 1-line block ×3, first 2 shown]
	v_add_u32_e32 v9, v0, v9
	v_sub_u32_e32 v6, v4, v6
	v_sub_u32_e32 v7, v3, v7
	;; [unrolled: 1-line block ×3, first 2 shown]
	v_lshrrev_b32_e32 v9, s17, v9
	v_mul_lo_u32 v8, v8, s2
	v_mul_lo_u32 v7, v7, s1
	;; [unrolled: 1-line block ×5, first 2 shown]
	v_add3_u32 v6, v7, v8, v6
	v_sub_u32_e32 v8, v0, v9
	v_mul_lo_u32 v8, v8, s15
	s_load_dwordx2 s[6:7], s[4:5], 0xe8
	s_load_dwordx4 s[0:3], s[4:5], 0xd8
	s_load_dwordx8 s[12:19], s[4:5], 0xb8
	v_ashrrev_i32_e32 v7, 31, v6
	v_ashrrev_i32_e32 v9, 31, v8
	v_add_co_u32_e32 v6, vcc, v8, v6
	v_addc_co_u32_e32 v7, vcc, v9, v7, vcc
	v_lshlrev_b64 v[6:7], 2, v[6:7]
	s_waitcnt lgkmcnt(0)
	v_mov_b32_e32 v9, s13
	v_add_co_u32_e32 v8, vcc, s12, v6
	v_addc_co_u32_e32 v9, vcc, v9, v7, vcc
	global_load_dword v10, v[8:9], off
	v_mov_b32_e32 v9, s15
	v_add_co_u32_e32 v8, vcc, s14, v6
	v_addc_co_u32_e32 v9, vcc, v9, v7, vcc
	global_load_dword v11, v[8:9], off
	;; [unrolled: 4-line block ×7, first 2 shown]
	v_mul_lo_u32 v7, v1, s10
	v_mul_lo_u32 v9, v3, s9
	s_load_dwordx2 s[0:1], s[4:5], 0x10
	v_mov_b32_e32 v1, v2
	v_lshlrev_b64 v[3:4], 2, v[0:1]
	v_add3_u32 v1, v9, v7, v15
	v_lshlrev_b64 v[0:1], 2, v[1:2]
	s_waitcnt lgkmcnt(0)
	v_mov_b32_e32 v2, s1
	v_add_co_u32_e32 v0, vcc, s0, v0
	v_addc_co_u32_e32 v1, vcc, v2, v1, vcc
	v_add_co_u32_e32 v0, vcc, v0, v3
	v_addc_co_u32_e32 v1, vcc, v1, v4, vcc
	s_waitcnt vmcnt(6)
	v_mul_f32_e32 v2, v5, v10
	s_waitcnt vmcnt(5)
	v_mul_f32_e32 v2, v2, v11
	;; [unrolled: 2-line block ×7, first 2 shown]
	global_store_dword v[0:1], v2, off
.LBB136_4:
	s_endpgm
	.section	.rodata,"a",@progbits
	.p2align	6, 0x0
	.amdhsa_kernel _ZL19k_bin_bcast_unravelIXadL_ZL6op_mulffEEfffJPKfS1_S1_S1_S1_S1_S1_EEvPKT0_PKT1_PT2_15HIP_vector_typeIjLj3EESB_SB_jSB_SB_SB_SB_SB_SB_iiiiiiiiiiiDpT3_
		.amdhsa_group_segment_fixed_size 0
		.amdhsa_private_segment_fixed_size 0
		.amdhsa_kernarg_size 496
		.amdhsa_user_sgpr_count 6
		.amdhsa_user_sgpr_private_segment_buffer 1
		.amdhsa_user_sgpr_dispatch_ptr 0
		.amdhsa_user_sgpr_queue_ptr 0
		.amdhsa_user_sgpr_kernarg_segment_ptr 1
		.amdhsa_user_sgpr_dispatch_id 0
		.amdhsa_user_sgpr_flat_scratch_init 0
		.amdhsa_user_sgpr_private_segment_size 0
		.amdhsa_uses_dynamic_stack 0
		.amdhsa_system_sgpr_private_segment_wavefront_offset 0
		.amdhsa_system_sgpr_workgroup_id_x 1
		.amdhsa_system_sgpr_workgroup_id_y 0
		.amdhsa_system_sgpr_workgroup_id_z 0
		.amdhsa_system_sgpr_workgroup_info 0
		.amdhsa_system_vgpr_workitem_id 0
		.amdhsa_next_free_vgpr 16
		.amdhsa_next_free_sgpr 28
		.amdhsa_reserve_vcc 1
		.amdhsa_reserve_flat_scratch 0
		.amdhsa_float_round_mode_32 0
		.amdhsa_float_round_mode_16_64 0
		.amdhsa_float_denorm_mode_32 3
		.amdhsa_float_denorm_mode_16_64 3
		.amdhsa_dx10_clamp 1
		.amdhsa_ieee_mode 1
		.amdhsa_fp16_overflow 0
		.amdhsa_exception_fp_ieee_invalid_op 0
		.amdhsa_exception_fp_denorm_src 0
		.amdhsa_exception_fp_ieee_div_zero 0
		.amdhsa_exception_fp_ieee_overflow 0
		.amdhsa_exception_fp_ieee_underflow 0
		.amdhsa_exception_fp_ieee_inexact 0
		.amdhsa_exception_int_div_zero 0
	.end_amdhsa_kernel
	.section	.text._ZL19k_bin_bcast_unravelIXadL_ZL6op_mulffEEfffJPKfS1_S1_S1_S1_S1_S1_EEvPKT0_PKT1_PT2_15HIP_vector_typeIjLj3EESB_SB_jSB_SB_SB_SB_SB_SB_iiiiiiiiiiiDpT3_,"axG",@progbits,_ZL19k_bin_bcast_unravelIXadL_ZL6op_mulffEEfffJPKfS1_S1_S1_S1_S1_S1_EEvPKT0_PKT1_PT2_15HIP_vector_typeIjLj3EESB_SB_jSB_SB_SB_SB_SB_SB_iiiiiiiiiiiDpT3_,comdat
.Lfunc_end136:
	.size	_ZL19k_bin_bcast_unravelIXadL_ZL6op_mulffEEfffJPKfS1_S1_S1_S1_S1_S1_EEvPKT0_PKT1_PT2_15HIP_vector_typeIjLj3EESB_SB_jSB_SB_SB_SB_SB_SB_iiiiiiiiiiiDpT3_, .Lfunc_end136-_ZL19k_bin_bcast_unravelIXadL_ZL6op_mulffEEfffJPKfS1_S1_S1_S1_S1_S1_EEvPKT0_PKT1_PT2_15HIP_vector_typeIjLj3EESB_SB_jSB_SB_SB_SB_SB_SB_iiiiiiiiiiiDpT3_
                                        ; -- End function
	.set _ZL19k_bin_bcast_unravelIXadL_ZL6op_mulffEEfffJPKfS1_S1_S1_S1_S1_S1_EEvPKT0_PKT1_PT2_15HIP_vector_typeIjLj3EESB_SB_jSB_SB_SB_SB_SB_SB_iiiiiiiiiiiDpT3_.num_vgpr, 16
	.set _ZL19k_bin_bcast_unravelIXadL_ZL6op_mulffEEfffJPKfS1_S1_S1_S1_S1_S1_EEvPKT0_PKT1_PT2_15HIP_vector_typeIjLj3EESB_SB_jSB_SB_SB_SB_SB_SB_iiiiiiiiiiiDpT3_.num_agpr, 0
	.set _ZL19k_bin_bcast_unravelIXadL_ZL6op_mulffEEfffJPKfS1_S1_S1_S1_S1_S1_EEvPKT0_PKT1_PT2_15HIP_vector_typeIjLj3EESB_SB_jSB_SB_SB_SB_SB_SB_iiiiiiiiiiiDpT3_.numbered_sgpr, 28
	.set _ZL19k_bin_bcast_unravelIXadL_ZL6op_mulffEEfffJPKfS1_S1_S1_S1_S1_S1_EEvPKT0_PKT1_PT2_15HIP_vector_typeIjLj3EESB_SB_jSB_SB_SB_SB_SB_SB_iiiiiiiiiiiDpT3_.num_named_barrier, 0
	.set _ZL19k_bin_bcast_unravelIXadL_ZL6op_mulffEEfffJPKfS1_S1_S1_S1_S1_S1_EEvPKT0_PKT1_PT2_15HIP_vector_typeIjLj3EESB_SB_jSB_SB_SB_SB_SB_SB_iiiiiiiiiiiDpT3_.private_seg_size, 0
	.set _ZL19k_bin_bcast_unravelIXadL_ZL6op_mulffEEfffJPKfS1_S1_S1_S1_S1_S1_EEvPKT0_PKT1_PT2_15HIP_vector_typeIjLj3EESB_SB_jSB_SB_SB_SB_SB_SB_iiiiiiiiiiiDpT3_.uses_vcc, 1
	.set _ZL19k_bin_bcast_unravelIXadL_ZL6op_mulffEEfffJPKfS1_S1_S1_S1_S1_S1_EEvPKT0_PKT1_PT2_15HIP_vector_typeIjLj3EESB_SB_jSB_SB_SB_SB_SB_SB_iiiiiiiiiiiDpT3_.uses_flat_scratch, 0
	.set _ZL19k_bin_bcast_unravelIXadL_ZL6op_mulffEEfffJPKfS1_S1_S1_S1_S1_S1_EEvPKT0_PKT1_PT2_15HIP_vector_typeIjLj3EESB_SB_jSB_SB_SB_SB_SB_SB_iiiiiiiiiiiDpT3_.has_dyn_sized_stack, 0
	.set _ZL19k_bin_bcast_unravelIXadL_ZL6op_mulffEEfffJPKfS1_S1_S1_S1_S1_S1_EEvPKT0_PKT1_PT2_15HIP_vector_typeIjLj3EESB_SB_jSB_SB_SB_SB_SB_SB_iiiiiiiiiiiDpT3_.has_recursion, 0
	.set _ZL19k_bin_bcast_unravelIXadL_ZL6op_mulffEEfffJPKfS1_S1_S1_S1_S1_S1_EEvPKT0_PKT1_PT2_15HIP_vector_typeIjLj3EESB_SB_jSB_SB_SB_SB_SB_SB_iiiiiiiiiiiDpT3_.has_indirect_call, 0
	.section	.AMDGPU.csdata,"",@progbits
; Kernel info:
; codeLenInByte = 832
; TotalNumSgprs: 32
; NumVgprs: 16
; ScratchSize: 0
; MemoryBound: 0
; FloatMode: 240
; IeeeMode: 1
; LDSByteSize: 0 bytes/workgroup (compile time only)
; SGPRBlocks: 3
; VGPRBlocks: 3
; NumSGPRsForWavesPerEU: 32
; NumVGPRsForWavesPerEU: 16
; Occupancy: 10
; WaveLimiterHint : 1
; COMPUTE_PGM_RSRC2:SCRATCH_EN: 0
; COMPUTE_PGM_RSRC2:USER_SGPR: 6
; COMPUTE_PGM_RSRC2:TRAP_HANDLER: 0
; COMPUTE_PGM_RSRC2:TGID_X_EN: 1
; COMPUTE_PGM_RSRC2:TGID_Y_EN: 0
; COMPUTE_PGM_RSRC2:TGID_Z_EN: 0
; COMPUTE_PGM_RSRC2:TIDIG_COMP_CNT: 0
	.section	.text._ZL11k_bin_bcastIXadL_ZL6op_mulffEEfffJPKfS1_S1_S1_S1_S1_S1_EEvPKT0_PKT1_PT2_iii15HIP_vector_typeIjLj3EESB_SB_SB_SB_iiiiiiiiiiiDpT3_,"axG",@progbits,_ZL11k_bin_bcastIXadL_ZL6op_mulffEEfffJPKfS1_S1_S1_S1_S1_S1_EEvPKT0_PKT1_PT2_iii15HIP_vector_typeIjLj3EESB_SB_SB_SB_iiiiiiiiiiiDpT3_,comdat
	.globl	_ZL11k_bin_bcastIXadL_ZL6op_mulffEEfffJPKfS1_S1_S1_S1_S1_S1_EEvPKT0_PKT1_PT2_iii15HIP_vector_typeIjLj3EESB_SB_SB_SB_iiiiiiiiiiiDpT3_ ; -- Begin function _ZL11k_bin_bcastIXadL_ZL6op_mulffEEfffJPKfS1_S1_S1_S1_S1_S1_EEvPKT0_PKT1_PT2_iii15HIP_vector_typeIjLj3EESB_SB_SB_SB_iiiiiiiiiiiDpT3_
	.p2align	8
	.type	_ZL11k_bin_bcastIXadL_ZL6op_mulffEEfffJPKfS1_S1_S1_S1_S1_S1_EEvPKT0_PKT1_PT2_iii15HIP_vector_typeIjLj3EESB_SB_SB_SB_iiiiiiiiiiiDpT3_,@function
_ZL11k_bin_bcastIXadL_ZL6op_mulffEEfffJPKfS1_S1_S1_S1_S1_S1_EEvPKT0_PKT1_PT2_iii15HIP_vector_typeIjLj3EESB_SB_SB_SB_iiiiiiiiiiiDpT3_: ; @_ZL11k_bin_bcastIXadL_ZL6op_mulffEEfffJPKfS1_S1_S1_S1_S1_S1_EEvPKT0_PKT1_PT2_iii15HIP_vector_typeIjLj3EESB_SB_SB_SB_iiiiiiiiiiiDpT3_
; %bb.0:
	s_load_dwordx2 s[0:1], s[4:5], 0xd4
	s_load_dwordx8 s[12:19], s[4:5], 0x18
	s_add_u32 s2, s4, 0xc8
	s_addc_u32 s3, s5, 0
	s_waitcnt lgkmcnt(0)
	s_and_b32 s1, s1, 0xffff
	s_mul_i32 s8, s8, s1
	v_add_u32_e32 v3, s8, v2
	v_mul_hi_u32 v2, v3, s15
	s_lshr_b32 s1, s0, 16
	s_and_b32 s8, s0, 0xffff
	s_mul_i32 s6, s6, s8
	v_add_u32_e32 v2, v3, v2
	v_lshrrev_b32_e32 v2, s16, v2
	v_mul_lo_u32 v4, v2, s17
	s_mul_i32 s7, s7, s1
	v_add_u32_e32 v0, s6, v0
	v_add_u32_e32 v1, s7, v1
	v_cmp_gt_u32_e32 vcc, s12, v0
	v_cmp_gt_u32_e64 s[0:1], s13, v1
	v_sub_u32_e32 v3, v3, v4
	s_and_b64 s[0:1], vcc, s[0:1]
	v_cmp_gt_u32_e32 vcc, s14, v2
	s_and_b64 s[0:1], s[0:1], vcc
	v_cmp_gt_u32_e32 vcc, s17, v3
	s_and_b64 s[0:1], s[0:1], vcc
	s_and_saveexec_b64 s[6:7], s[0:1]
	s_cbranch_execz .LBB137_6
; %bb.1:
	v_cmp_gt_i32_e32 vcc, s12, v0
	s_and_b64 exec, exec, vcc
	s_cbranch_execz .LBB137_6
; %bb.2:
	s_load_dwordx8 s[36:43], s[4:5], 0x3c
	s_load_dwordx8 s[20:27], s[4:5], 0x60
	s_load_dwordx4 s[28:31], s[4:5], 0x80
	s_load_dword s6, s[2:3], 0x0
	s_load_dword s0, s[4:5], 0x5c
	s_waitcnt lgkmcnt(0)
	v_mul_hi_u32 v4, s36, v1
	v_mul_hi_u32 v5, s39, v2
	;; [unrolled: 1-line block ×3, first 2 shown]
	v_mul_lo_u32 v7, v3, s26
	v_add_u32_e32 v4, v1, v4
	v_add_u32_e32 v5, v2, v5
	;; [unrolled: 1-line block ×3, first 2 shown]
	v_lshrrev_b32_e32 v4, s37, v4
	v_lshrrev_b32_e32 v5, s40, v5
	;; [unrolled: 1-line block ×3, first 2 shown]
	v_mul_lo_u32 v4, v4, s38
	v_mul_lo_u32 v5, v5, s41
	;; [unrolled: 1-line block ×5, first 2 shown]
	v_sub_u32_e32 v4, v1, v4
	v_sub_u32_e32 v5, v2, v5
	;; [unrolled: 1-line block ×3, first 2 shown]
	s_load_dword s9, s[4:5], 0x38
	s_load_dwordx2 s[0:1], s[4:5], 0x0
	s_load_dwordx2 s[2:3], s[4:5], 0x10
	v_mul_lo_u32 v6, v6, s30
	v_mul_lo_u32 v5, v5, s29
	;; [unrolled: 1-line block ×6, first 2 shown]
	v_add3_u32 v1, v8, v9, v7
	v_mov_b32_e32 v2, 0
	v_mov_b32_e32 v8, v2
	v_lshlrev_b64 v[1:2], 2, v[1:2]
	v_add3_u32 v4, v5, v6, v4
	v_add3_u32 v7, v10, v11, v3
	s_waitcnt lgkmcnt(0)
	v_mov_b32_e32 v3, s1
	v_add_co_u32_e32 v5, vcc, s0, v1
	v_addc_co_u32_e32 v6, vcc, v3, v2, vcc
	v_lshlrev_b64 v[1:2], 2, v[7:8]
	s_load_dwordx8 s[36:43], s[4:5], 0xb0
	s_load_dwordx8 s[44:51], s[4:5], 0x90
	v_mov_b32_e32 v3, s3
	v_add_co_u32_e32 v7, vcc, s2, v1
	v_addc_co_u32_e32 v8, vcc, v3, v2, vcc
	s_cmp_lg_u64 s[0:1], 0
	v_mul_lo_u32 v2, s23, v0
	s_cselect_b64 s[0:1], -1, 0
	s_mul_i32 s6, s6, s8
	v_cndmask_b32_e64 v1, 0, 1, s[0:1]
	s_mov_b64 s[4:5], 0
	s_mul_i32 s7, s6, s23
	s_sub_i32 s8, 0, s9
	v_cmp_ne_u32_e64 s[0:1], 1, v1
	s_waitcnt lgkmcnt(0)
	v_mov_b32_e32 v9, s45
	v_mov_b32_e32 v10, s47
	;; [unrolled: 1-line block ×7, first 2 shown]
	s_branch .LBB137_4
.LBB137_3:                              ;   in Loop: Header=BB137_4 Depth=1
	v_mul_hi_u32 v1, s18, v0
	v_add_u32_e32 v2, s7, v2
	v_add_u32_e32 v1, v0, v1
	v_lshrrev_b32_e32 v1, s19, v1
	v_mad_u64_u32 v[16:17], s[2:3], s8, v1, v[0:1]
	v_mul_lo_u32 v1, v16, s27
	v_add_co_u32_e32 v16, vcc, v1, v4
	v_addc_co_u32_e64 v17, s[2:3], 0, 0, vcc
	v_lshlrev_b64 v[16:17], 2, v[16:17]
	v_ashrrev_i32_e32 v1, 31, v0
	v_add_co_u32_e32 v18, vcc, s44, v16
	v_addc_co_u32_e32 v19, vcc, v9, v17, vcc
	v_add_co_u32_e32 v20, vcc, s46, v16
	v_addc_co_u32_e32 v21, vcc, v10, v17, vcc
	v_add_co_u32_e32 v22, vcc, s48, v16
	v_addc_co_u32_e32 v23, vcc, v11, v17, vcc
	v_add_co_u32_e32 v24, vcc, s50, v16
	v_addc_co_u32_e32 v25, vcc, v12, v17, vcc
	v_add_co_u32_e32 v26, vcc, s36, v16
	v_addc_co_u32_e32 v27, vcc, v13, v17, vcc
	v_add_co_u32_e32 v28, vcc, s38, v16
	v_addc_co_u32_e32 v29, vcc, v14, v17, vcc
	v_add_co_u32_e32 v16, vcc, s40, v16
	v_addc_co_u32_e32 v17, vcc, v15, v17, vcc
	global_load_dword v30, v[18:19], off
	global_load_dword v31, v[20:21], off
	;; [unrolled: 1-line block ×3, first 2 shown]
                                        ; kill: killed $vgpr18 killed $vgpr19
                                        ; kill: killed $vgpr20 killed $vgpr21
                                        ; kill: killed $vgpr22 killed $vgpr23
	s_nop 0
	global_load_dword v18, v[24:25], off
	global_load_dword v19, v[26:27], off
	;; [unrolled: 1-line block ×4, first 2 shown]
	v_lshlrev_b64 v[16:17], 2, v[0:1]
	v_add_u32_e32 v0, s6, v0
	v_cmp_le_i32_e32 vcc, s12, v0
	v_add_co_u32_e64 v16, s[2:3], v7, v16
	v_addc_co_u32_e64 v17, s[2:3], v8, v17, s[2:3]
	s_or_b64 s[4:5], vcc, s[4:5]
	s_waitcnt vmcnt(6)
	v_mul_f32_e32 v1, v3, v30
	s_waitcnt vmcnt(5)
	v_mul_f32_e32 v1, v1, v31
	;; [unrolled: 2-line block ×7, first 2 shown]
	global_store_dword v[16:17], v1, off
	s_andn2_b64 exec, exec, s[4:5]
	s_cbranch_execz .LBB137_6
.LBB137_4:                              ; =>This Inner Loop Header: Depth=1
	s_and_b64 vcc, exec, s[0:1]
	v_mov_b32_e32 v3, 0
	s_cbranch_vccnz .LBB137_3
; %bb.5:                                ;   in Loop: Header=BB137_4 Depth=1
	v_ashrrev_i32_e32 v3, 31, v2
	v_lshlrev_b64 v[16:17], 2, v[2:3]
	v_add_co_u32_e32 v16, vcc, v5, v16
	v_addc_co_u32_e32 v17, vcc, v6, v17, vcc
	global_load_dword v3, v[16:17], off
	s_branch .LBB137_3
.LBB137_6:
	s_endpgm
	.section	.rodata,"a",@progbits
	.p2align	6, 0x0
	.amdhsa_kernel _ZL11k_bin_bcastIXadL_ZL6op_mulffEEfffJPKfS1_S1_S1_S1_S1_S1_EEvPKT0_PKT1_PT2_iii15HIP_vector_typeIjLj3EESB_SB_SB_SB_iiiiiiiiiiiDpT3_
		.amdhsa_group_segment_fixed_size 0
		.amdhsa_private_segment_fixed_size 0
		.amdhsa_kernarg_size 456
		.amdhsa_user_sgpr_count 6
		.amdhsa_user_sgpr_private_segment_buffer 1
		.amdhsa_user_sgpr_dispatch_ptr 0
		.amdhsa_user_sgpr_queue_ptr 0
		.amdhsa_user_sgpr_kernarg_segment_ptr 1
		.amdhsa_user_sgpr_dispatch_id 0
		.amdhsa_user_sgpr_flat_scratch_init 0
		.amdhsa_user_sgpr_private_segment_size 0
		.amdhsa_uses_dynamic_stack 0
		.amdhsa_system_sgpr_private_segment_wavefront_offset 0
		.amdhsa_system_sgpr_workgroup_id_x 1
		.amdhsa_system_sgpr_workgroup_id_y 1
		.amdhsa_system_sgpr_workgroup_id_z 1
		.amdhsa_system_sgpr_workgroup_info 0
		.amdhsa_system_vgpr_workitem_id 2
		.amdhsa_next_free_vgpr 33
		.amdhsa_next_free_sgpr 52
		.amdhsa_reserve_vcc 1
		.amdhsa_reserve_flat_scratch 0
		.amdhsa_float_round_mode_32 0
		.amdhsa_float_round_mode_16_64 0
		.amdhsa_float_denorm_mode_32 3
		.amdhsa_float_denorm_mode_16_64 3
		.amdhsa_dx10_clamp 1
		.amdhsa_ieee_mode 1
		.amdhsa_fp16_overflow 0
		.amdhsa_exception_fp_ieee_invalid_op 0
		.amdhsa_exception_fp_denorm_src 0
		.amdhsa_exception_fp_ieee_div_zero 0
		.amdhsa_exception_fp_ieee_overflow 0
		.amdhsa_exception_fp_ieee_underflow 0
		.amdhsa_exception_fp_ieee_inexact 0
		.amdhsa_exception_int_div_zero 0
	.end_amdhsa_kernel
	.section	.text._ZL11k_bin_bcastIXadL_ZL6op_mulffEEfffJPKfS1_S1_S1_S1_S1_S1_EEvPKT0_PKT1_PT2_iii15HIP_vector_typeIjLj3EESB_SB_SB_SB_iiiiiiiiiiiDpT3_,"axG",@progbits,_ZL11k_bin_bcastIXadL_ZL6op_mulffEEfffJPKfS1_S1_S1_S1_S1_S1_EEvPKT0_PKT1_PT2_iii15HIP_vector_typeIjLj3EESB_SB_SB_SB_iiiiiiiiiiiDpT3_,comdat
.Lfunc_end137:
	.size	_ZL11k_bin_bcastIXadL_ZL6op_mulffEEfffJPKfS1_S1_S1_S1_S1_S1_EEvPKT0_PKT1_PT2_iii15HIP_vector_typeIjLj3EESB_SB_SB_SB_iiiiiiiiiiiDpT3_, .Lfunc_end137-_ZL11k_bin_bcastIXadL_ZL6op_mulffEEfffJPKfS1_S1_S1_S1_S1_S1_EEvPKT0_PKT1_PT2_iii15HIP_vector_typeIjLj3EESB_SB_SB_SB_iiiiiiiiiiiDpT3_
                                        ; -- End function
	.set _ZL11k_bin_bcastIXadL_ZL6op_mulffEEfffJPKfS1_S1_S1_S1_S1_S1_EEvPKT0_PKT1_PT2_iii15HIP_vector_typeIjLj3EESB_SB_SB_SB_iiiiiiiiiiiDpT3_.num_vgpr, 33
	.set _ZL11k_bin_bcastIXadL_ZL6op_mulffEEfffJPKfS1_S1_S1_S1_S1_S1_EEvPKT0_PKT1_PT2_iii15HIP_vector_typeIjLj3EESB_SB_SB_SB_iiiiiiiiiiiDpT3_.num_agpr, 0
	.set _ZL11k_bin_bcastIXadL_ZL6op_mulffEEfffJPKfS1_S1_S1_S1_S1_S1_EEvPKT0_PKT1_PT2_iii15HIP_vector_typeIjLj3EESB_SB_SB_SB_iiiiiiiiiiiDpT3_.numbered_sgpr, 52
	.set _ZL11k_bin_bcastIXadL_ZL6op_mulffEEfffJPKfS1_S1_S1_S1_S1_S1_EEvPKT0_PKT1_PT2_iii15HIP_vector_typeIjLj3EESB_SB_SB_SB_iiiiiiiiiiiDpT3_.num_named_barrier, 0
	.set _ZL11k_bin_bcastIXadL_ZL6op_mulffEEfffJPKfS1_S1_S1_S1_S1_S1_EEvPKT0_PKT1_PT2_iii15HIP_vector_typeIjLj3EESB_SB_SB_SB_iiiiiiiiiiiDpT3_.private_seg_size, 0
	.set _ZL11k_bin_bcastIXadL_ZL6op_mulffEEfffJPKfS1_S1_S1_S1_S1_S1_EEvPKT0_PKT1_PT2_iii15HIP_vector_typeIjLj3EESB_SB_SB_SB_iiiiiiiiiiiDpT3_.uses_vcc, 1
	.set _ZL11k_bin_bcastIXadL_ZL6op_mulffEEfffJPKfS1_S1_S1_S1_S1_S1_EEvPKT0_PKT1_PT2_iii15HIP_vector_typeIjLj3EESB_SB_SB_SB_iiiiiiiiiiiDpT3_.uses_flat_scratch, 0
	.set _ZL11k_bin_bcastIXadL_ZL6op_mulffEEfffJPKfS1_S1_S1_S1_S1_S1_EEvPKT0_PKT1_PT2_iii15HIP_vector_typeIjLj3EESB_SB_SB_SB_iiiiiiiiiiiDpT3_.has_dyn_sized_stack, 0
	.set _ZL11k_bin_bcastIXadL_ZL6op_mulffEEfffJPKfS1_S1_S1_S1_S1_S1_EEvPKT0_PKT1_PT2_iii15HIP_vector_typeIjLj3EESB_SB_SB_SB_iiiiiiiiiiiDpT3_.has_recursion, 0
	.set _ZL11k_bin_bcastIXadL_ZL6op_mulffEEfffJPKfS1_S1_S1_S1_S1_S1_EEvPKT0_PKT1_PT2_iii15HIP_vector_typeIjLj3EESB_SB_SB_SB_iiiiiiiiiiiDpT3_.has_indirect_call, 0
	.section	.AMDGPU.csdata,"",@progbits
; Kernel info:
; codeLenInByte = 888
; TotalNumSgprs: 56
; NumVgprs: 33
; ScratchSize: 0
; MemoryBound: 0
; FloatMode: 240
; IeeeMode: 1
; LDSByteSize: 0 bytes/workgroup (compile time only)
; SGPRBlocks: 6
; VGPRBlocks: 8
; NumSGPRsForWavesPerEU: 56
; NumVGPRsForWavesPerEU: 33
; Occupancy: 7
; WaveLimiterHint : 1
; COMPUTE_PGM_RSRC2:SCRATCH_EN: 0
; COMPUTE_PGM_RSRC2:USER_SGPR: 6
; COMPUTE_PGM_RSRC2:TRAP_HANDLER: 0
; COMPUTE_PGM_RSRC2:TGID_X_EN: 1
; COMPUTE_PGM_RSRC2:TGID_Y_EN: 1
; COMPUTE_PGM_RSRC2:TGID_Z_EN: 1
; COMPUTE_PGM_RSRC2:TIDIG_COMP_CNT: 2
	.section	.text._ZL19k_bin_bcast_unravelIXadL_ZL6op_mulffEE6__halfS0_S0_JPKS0_S2_S2_S2_S2_S2_S2_EEvPKT0_PKT1_PT2_15HIP_vector_typeIjLj3EESC_SC_jSC_SC_SC_SC_SC_SC_iiiiiiiiiiiDpT3_,"axG",@progbits,_ZL19k_bin_bcast_unravelIXadL_ZL6op_mulffEE6__halfS0_S0_JPKS0_S2_S2_S2_S2_S2_S2_EEvPKT0_PKT1_PT2_15HIP_vector_typeIjLj3EESC_SC_jSC_SC_SC_SC_SC_SC_iiiiiiiiiiiDpT3_,comdat
	.globl	_ZL19k_bin_bcast_unravelIXadL_ZL6op_mulffEE6__halfS0_S0_JPKS0_S2_S2_S2_S2_S2_S2_EEvPKT0_PKT1_PT2_15HIP_vector_typeIjLj3EESC_SC_jSC_SC_SC_SC_SC_SC_iiiiiiiiiiiDpT3_ ; -- Begin function _ZL19k_bin_bcast_unravelIXadL_ZL6op_mulffEE6__halfS0_S0_JPKS0_S2_S2_S2_S2_S2_S2_EEvPKT0_PKT1_PT2_15HIP_vector_typeIjLj3EESC_SC_jSC_SC_SC_SC_SC_SC_iiiiiiiiiiiDpT3_
	.p2align	8
	.type	_ZL19k_bin_bcast_unravelIXadL_ZL6op_mulffEE6__halfS0_S0_JPKS0_S2_S2_S2_S2_S2_S2_EEvPKT0_PKT1_PT2_15HIP_vector_typeIjLj3EESC_SC_jSC_SC_SC_SC_SC_SC_iiiiiiiiiiiDpT3_,@function
_ZL19k_bin_bcast_unravelIXadL_ZL6op_mulffEE6__halfS0_S0_JPKS0_S2_S2_S2_S2_S2_S2_EEvPKT0_PKT1_PT2_15HIP_vector_typeIjLj3EESC_SC_jSC_SC_SC_SC_SC_SC_iiiiiiiiiiiDpT3_: ; @_ZL19k_bin_bcast_unravelIXadL_ZL6op_mulffEE6__halfS0_S0_JPKS0_S2_S2_S2_S2_S2_S2_EEvPKT0_PKT1_PT2_15HIP_vector_typeIjLj3EESC_SC_jSC_SC_SC_SC_SC_SC_iiiiiiiiiiiDpT3_
; %bb.0:
	s_load_dword s0, s[4:5], 0xfc
	s_load_dwordx8 s[8:15], s[4:5], 0x38
	s_waitcnt lgkmcnt(0)
	s_and_b32 s0, s0, 0xffff
	s_mul_i32 s6, s6, s0
	v_add_u32_e32 v0, s6, v0
	v_mul_hi_u32 v1, v0, s10
	s_load_dwordx4 s[0:3], s[4:5], 0x18
	s_waitcnt lgkmcnt(0)
	s_load_dword s3, s[4:5], 0x2c
	v_add_u32_e32 v1, v0, v1
	v_lshrrev_b32_e32 v1, s11, v1
	v_mul_lo_u32 v2, v1, s12
	v_sub_u32_e32 v0, v0, v2
	v_mul_hi_u32 v2, v0, s13
	v_add_u32_e32 v2, v0, v2
	v_lshrrev_b32_e32 v3, s14, v2
	v_mul_lo_u32 v2, v3, s15
	v_cmp_gt_u32_e32 vcc, s8, v3
	v_sub_u32_e32 v0, v0, v2
	v_mul_hi_u32 v2, v0, s0
	v_add_u32_e32 v2, v0, v2
	v_lshrrev_b32_e32 v4, s1, v2
	v_mul_lo_u32 v2, v4, s2
	s_waitcnt lgkmcnt(0)
	v_cmp_gt_u32_e64 s[0:1], s3, v4
	v_sub_u32_e32 v0, v0, v2
	v_cmp_gt_u32_e64 s[2:3], s2, v0
	s_and_b64 s[0:1], s[2:3], s[0:1]
	s_and_b64 s[0:1], s[0:1], vcc
	v_cmp_gt_u32_e32 vcc, s9, v1
	s_and_b64 s[0:1], vcc, s[0:1]
	s_and_saveexec_b64 s[2:3], s[0:1]
	s_cbranch_execz .LBB138_4
; %bb.1:
	s_load_dwordx2 s[6:7], s[4:5], 0x0
	s_load_dwordx4 s[0:3], s[4:5], 0xa8
	s_load_dwordx8 s[8:15], s[4:5], 0x88
	s_load_dwordx4 s[24:27], s[4:5], 0x78
	s_load_dwordx8 s[16:23], s[4:5], 0x58
	v_mov_b32_e32 v2, 0
	s_waitcnt lgkmcnt(0)
	s_cmp_eq_u64 s[6:7], 0
	v_mov_b32_e32 v5, 0
	s_cbranch_scc1 .LBB138_3
; %bb.2:
	v_mul_lo_u32 v5, v1, s14
	v_mul_lo_u32 v7, v3, s13
	;; [unrolled: 1-line block ×3, first 2 shown]
	v_mov_b32_e32 v6, 0
	v_mov_b32_e32 v9, s7
	v_add3_u32 v5, v7, v5, v8
	v_lshlrev_b64 v[7:8], 1, v[5:6]
	v_mul_lo_u32 v5, v0, s11
	v_add_co_u32_e32 v7, vcc, s6, v7
	v_addc_co_u32_e32 v8, vcc, v9, v8, vcc
	v_lshlrev_b64 v[5:6], 1, v[5:6]
	v_add_co_u32_e32 v5, vcc, v7, v5
	v_addc_co_u32_e32 v6, vcc, v8, v6, vcc
	global_load_ushort v5, v[5:6], off
	s_waitcnt vmcnt(0)
	v_cvt_f32_f16_e32 v5, v5
.LBB138_3:
	v_mul_hi_u32 v6, s19, v4
	v_mul_hi_u32 v7, s22, v3
	;; [unrolled: 1-line block ×4, first 2 shown]
	v_add_u32_e32 v6, v4, v6
	v_add_u32_e32 v7, v3, v7
	;; [unrolled: 1-line block ×3, first 2 shown]
	v_lshrrev_b32_e32 v6, s20, v6
	v_lshrrev_b32_e32 v7, s23, v7
	;; [unrolled: 1-line block ×3, first 2 shown]
	v_mul_lo_u32 v6, v6, s21
	v_mul_lo_u32 v7, v7, s24
	;; [unrolled: 1-line block ×3, first 2 shown]
	v_add_u32_e32 v9, v0, v9
	v_sub_u32_e32 v6, v4, v6
	v_sub_u32_e32 v7, v3, v7
	v_sub_u32_e32 v8, v1, v8
	v_lshrrev_b32_e32 v9, s17, v9
	v_mul_lo_u32 v8, v8, s2
	v_mul_lo_u32 v7, v7, s1
	;; [unrolled: 1-line block ×5, first 2 shown]
	v_add3_u32 v6, v7, v8, v6
	v_sub_u32_e32 v8, v0, v9
	v_mul_lo_u32 v8, v8, s15
	s_load_dwordx2 s[6:7], s[4:5], 0xe8
	s_load_dwordx4 s[0:3], s[4:5], 0xd8
	s_load_dwordx8 s[12:19], s[4:5], 0xb8
	v_ashrrev_i32_e32 v7, 31, v6
	v_ashrrev_i32_e32 v9, 31, v8
	v_add_co_u32_e32 v6, vcc, v8, v6
	v_addc_co_u32_e32 v7, vcc, v9, v7, vcc
	v_lshlrev_b64 v[6:7], 1, v[6:7]
	s_waitcnt lgkmcnt(0)
	v_mov_b32_e32 v9, s13
	v_add_co_u32_e32 v8, vcc, s12, v6
	v_addc_co_u32_e32 v9, vcc, v9, v7, vcc
	global_load_ushort v10, v[8:9], off
	v_mov_b32_e32 v9, s15
	v_add_co_u32_e32 v8, vcc, s14, v6
	v_addc_co_u32_e32 v9, vcc, v9, v7, vcc
	global_load_ushort v11, v[8:9], off
	;; [unrolled: 4-line block ×7, first 2 shown]
	v_mul_lo_u32 v7, v1, s10
	v_mul_lo_u32 v9, v3, s9
	s_load_dwordx2 s[0:1], s[4:5], 0x10
	v_mov_b32_e32 v1, v2
	v_lshlrev_b64 v[3:4], 1, v[0:1]
	v_add3_u32 v1, v9, v7, v15
	v_lshlrev_b64 v[0:1], 1, v[1:2]
	s_waitcnt lgkmcnt(0)
	v_mov_b32_e32 v2, s1
	v_add_co_u32_e32 v0, vcc, s0, v0
	v_addc_co_u32_e32 v1, vcc, v2, v1, vcc
	v_add_co_u32_e32 v0, vcc, v0, v3
	v_addc_co_u32_e32 v1, vcc, v1, v4, vcc
	s_waitcnt vmcnt(6)
	v_cvt_f32_f16_e32 v2, v10
	v_mul_f32_e32 v2, v5, v2
	s_waitcnt vmcnt(5)
	v_cvt_f32_f16_e32 v7, v11
	v_mul_f32_e32 v2, v2, v7
	;; [unrolled: 3-line block ×6, first 2 shown]
	s_waitcnt vmcnt(0)
	v_fma_mixlo_f16 v2, v2, v6, 0 op_sel_hi:[0,1,0]
	global_store_short v[0:1], v2, off
.LBB138_4:
	s_endpgm
	.section	.rodata,"a",@progbits
	.p2align	6, 0x0
	.amdhsa_kernel _ZL19k_bin_bcast_unravelIXadL_ZL6op_mulffEE6__halfS0_S0_JPKS0_S2_S2_S2_S2_S2_S2_EEvPKT0_PKT1_PT2_15HIP_vector_typeIjLj3EESC_SC_jSC_SC_SC_SC_SC_SC_iiiiiiiiiiiDpT3_
		.amdhsa_group_segment_fixed_size 0
		.amdhsa_private_segment_fixed_size 0
		.amdhsa_kernarg_size 496
		.amdhsa_user_sgpr_count 6
		.amdhsa_user_sgpr_private_segment_buffer 1
		.amdhsa_user_sgpr_dispatch_ptr 0
		.amdhsa_user_sgpr_queue_ptr 0
		.amdhsa_user_sgpr_kernarg_segment_ptr 1
		.amdhsa_user_sgpr_dispatch_id 0
		.amdhsa_user_sgpr_flat_scratch_init 0
		.amdhsa_user_sgpr_private_segment_size 0
		.amdhsa_uses_dynamic_stack 0
		.amdhsa_system_sgpr_private_segment_wavefront_offset 0
		.amdhsa_system_sgpr_workgroup_id_x 1
		.amdhsa_system_sgpr_workgroup_id_y 0
		.amdhsa_system_sgpr_workgroup_id_z 0
		.amdhsa_system_sgpr_workgroup_info 0
		.amdhsa_system_vgpr_workitem_id 0
		.amdhsa_next_free_vgpr 16
		.amdhsa_next_free_sgpr 28
		.amdhsa_reserve_vcc 1
		.amdhsa_reserve_flat_scratch 0
		.amdhsa_float_round_mode_32 0
		.amdhsa_float_round_mode_16_64 0
		.amdhsa_float_denorm_mode_32 3
		.amdhsa_float_denorm_mode_16_64 3
		.amdhsa_dx10_clamp 1
		.amdhsa_ieee_mode 1
		.amdhsa_fp16_overflow 0
		.amdhsa_exception_fp_ieee_invalid_op 0
		.amdhsa_exception_fp_denorm_src 0
		.amdhsa_exception_fp_ieee_div_zero 0
		.amdhsa_exception_fp_ieee_overflow 0
		.amdhsa_exception_fp_ieee_underflow 0
		.amdhsa_exception_fp_ieee_inexact 0
		.amdhsa_exception_int_div_zero 0
	.end_amdhsa_kernel
	.section	.text._ZL19k_bin_bcast_unravelIXadL_ZL6op_mulffEE6__halfS0_S0_JPKS0_S2_S2_S2_S2_S2_S2_EEvPKT0_PKT1_PT2_15HIP_vector_typeIjLj3EESC_SC_jSC_SC_SC_SC_SC_SC_iiiiiiiiiiiDpT3_,"axG",@progbits,_ZL19k_bin_bcast_unravelIXadL_ZL6op_mulffEE6__halfS0_S0_JPKS0_S2_S2_S2_S2_S2_S2_EEvPKT0_PKT1_PT2_15HIP_vector_typeIjLj3EESC_SC_jSC_SC_SC_SC_SC_SC_iiiiiiiiiiiDpT3_,comdat
.Lfunc_end138:
	.size	_ZL19k_bin_bcast_unravelIXadL_ZL6op_mulffEE6__halfS0_S0_JPKS0_S2_S2_S2_S2_S2_S2_EEvPKT0_PKT1_PT2_15HIP_vector_typeIjLj3EESC_SC_jSC_SC_SC_SC_SC_SC_iiiiiiiiiiiDpT3_, .Lfunc_end138-_ZL19k_bin_bcast_unravelIXadL_ZL6op_mulffEE6__halfS0_S0_JPKS0_S2_S2_S2_S2_S2_S2_EEvPKT0_PKT1_PT2_15HIP_vector_typeIjLj3EESC_SC_jSC_SC_SC_SC_SC_SC_iiiiiiiiiiiDpT3_
                                        ; -- End function
	.set _ZL19k_bin_bcast_unravelIXadL_ZL6op_mulffEE6__halfS0_S0_JPKS0_S2_S2_S2_S2_S2_S2_EEvPKT0_PKT1_PT2_15HIP_vector_typeIjLj3EESC_SC_jSC_SC_SC_SC_SC_SC_iiiiiiiiiiiDpT3_.num_vgpr, 16
	.set _ZL19k_bin_bcast_unravelIXadL_ZL6op_mulffEE6__halfS0_S0_JPKS0_S2_S2_S2_S2_S2_S2_EEvPKT0_PKT1_PT2_15HIP_vector_typeIjLj3EESC_SC_jSC_SC_SC_SC_SC_SC_iiiiiiiiiiiDpT3_.num_agpr, 0
	.set _ZL19k_bin_bcast_unravelIXadL_ZL6op_mulffEE6__halfS0_S0_JPKS0_S2_S2_S2_S2_S2_S2_EEvPKT0_PKT1_PT2_15HIP_vector_typeIjLj3EESC_SC_jSC_SC_SC_SC_SC_SC_iiiiiiiiiiiDpT3_.numbered_sgpr, 28
	.set _ZL19k_bin_bcast_unravelIXadL_ZL6op_mulffEE6__halfS0_S0_JPKS0_S2_S2_S2_S2_S2_S2_EEvPKT0_PKT1_PT2_15HIP_vector_typeIjLj3EESC_SC_jSC_SC_SC_SC_SC_SC_iiiiiiiiiiiDpT3_.num_named_barrier, 0
	.set _ZL19k_bin_bcast_unravelIXadL_ZL6op_mulffEE6__halfS0_S0_JPKS0_S2_S2_S2_S2_S2_S2_EEvPKT0_PKT1_PT2_15HIP_vector_typeIjLj3EESC_SC_jSC_SC_SC_SC_SC_SC_iiiiiiiiiiiDpT3_.private_seg_size, 0
	.set _ZL19k_bin_bcast_unravelIXadL_ZL6op_mulffEE6__halfS0_S0_JPKS0_S2_S2_S2_S2_S2_S2_EEvPKT0_PKT1_PT2_15HIP_vector_typeIjLj3EESC_SC_jSC_SC_SC_SC_SC_SC_iiiiiiiiiiiDpT3_.uses_vcc, 1
	.set _ZL19k_bin_bcast_unravelIXadL_ZL6op_mulffEE6__halfS0_S0_JPKS0_S2_S2_S2_S2_S2_S2_EEvPKT0_PKT1_PT2_15HIP_vector_typeIjLj3EESC_SC_jSC_SC_SC_SC_SC_SC_iiiiiiiiiiiDpT3_.uses_flat_scratch, 0
	.set _ZL19k_bin_bcast_unravelIXadL_ZL6op_mulffEE6__halfS0_S0_JPKS0_S2_S2_S2_S2_S2_S2_EEvPKT0_PKT1_PT2_15HIP_vector_typeIjLj3EESC_SC_jSC_SC_SC_SC_SC_SC_iiiiiiiiiiiDpT3_.has_dyn_sized_stack, 0
	.set _ZL19k_bin_bcast_unravelIXadL_ZL6op_mulffEE6__halfS0_S0_JPKS0_S2_S2_S2_S2_S2_S2_EEvPKT0_PKT1_PT2_15HIP_vector_typeIjLj3EESC_SC_jSC_SC_SC_SC_SC_SC_iiiiiiiiiiiDpT3_.has_recursion, 0
	.set _ZL19k_bin_bcast_unravelIXadL_ZL6op_mulffEE6__halfS0_S0_JPKS0_S2_S2_S2_S2_S2_S2_EEvPKT0_PKT1_PT2_15HIP_vector_typeIjLj3EESC_SC_jSC_SC_SC_SC_SC_SC_iiiiiiiiiiiDpT3_.has_indirect_call, 0
	.section	.AMDGPU.csdata,"",@progbits
; Kernel info:
; codeLenInByte = 868
; TotalNumSgprs: 32
; NumVgprs: 16
; ScratchSize: 0
; MemoryBound: 0
; FloatMode: 240
; IeeeMode: 1
; LDSByteSize: 0 bytes/workgroup (compile time only)
; SGPRBlocks: 3
; VGPRBlocks: 3
; NumSGPRsForWavesPerEU: 32
; NumVGPRsForWavesPerEU: 16
; Occupancy: 10
; WaveLimiterHint : 1
; COMPUTE_PGM_RSRC2:SCRATCH_EN: 0
; COMPUTE_PGM_RSRC2:USER_SGPR: 6
; COMPUTE_PGM_RSRC2:TRAP_HANDLER: 0
; COMPUTE_PGM_RSRC2:TGID_X_EN: 1
; COMPUTE_PGM_RSRC2:TGID_Y_EN: 0
; COMPUTE_PGM_RSRC2:TGID_Z_EN: 0
; COMPUTE_PGM_RSRC2:TIDIG_COMP_CNT: 0
	.section	.text._ZL11k_bin_bcastIXadL_ZL6op_mulffEE6__halfS0_S0_JPKS0_S2_S2_S2_S2_S2_S2_EEvPKT0_PKT1_PT2_iii15HIP_vector_typeIjLj3EESC_SC_SC_SC_iiiiiiiiiiiDpT3_,"axG",@progbits,_ZL11k_bin_bcastIXadL_ZL6op_mulffEE6__halfS0_S0_JPKS0_S2_S2_S2_S2_S2_S2_EEvPKT0_PKT1_PT2_iii15HIP_vector_typeIjLj3EESC_SC_SC_SC_iiiiiiiiiiiDpT3_,comdat
	.globl	_ZL11k_bin_bcastIXadL_ZL6op_mulffEE6__halfS0_S0_JPKS0_S2_S2_S2_S2_S2_S2_EEvPKT0_PKT1_PT2_iii15HIP_vector_typeIjLj3EESC_SC_SC_SC_iiiiiiiiiiiDpT3_ ; -- Begin function _ZL11k_bin_bcastIXadL_ZL6op_mulffEE6__halfS0_S0_JPKS0_S2_S2_S2_S2_S2_S2_EEvPKT0_PKT1_PT2_iii15HIP_vector_typeIjLj3EESC_SC_SC_SC_iiiiiiiiiiiDpT3_
	.p2align	8
	.type	_ZL11k_bin_bcastIXadL_ZL6op_mulffEE6__halfS0_S0_JPKS0_S2_S2_S2_S2_S2_S2_EEvPKT0_PKT1_PT2_iii15HIP_vector_typeIjLj3EESC_SC_SC_SC_iiiiiiiiiiiDpT3_,@function
_ZL11k_bin_bcastIXadL_ZL6op_mulffEE6__halfS0_S0_JPKS0_S2_S2_S2_S2_S2_S2_EEvPKT0_PKT1_PT2_iii15HIP_vector_typeIjLj3EESC_SC_SC_SC_iiiiiiiiiiiDpT3_: ; @_ZL11k_bin_bcastIXadL_ZL6op_mulffEE6__halfS0_S0_JPKS0_S2_S2_S2_S2_S2_S2_EEvPKT0_PKT1_PT2_iii15HIP_vector_typeIjLj3EESC_SC_SC_SC_iiiiiiiiiiiDpT3_
; %bb.0:
	s_load_dwordx2 s[0:1], s[4:5], 0xd4
	s_load_dwordx8 s[12:19], s[4:5], 0x18
	s_add_u32 s2, s4, 0xc8
	s_addc_u32 s3, s5, 0
	s_waitcnt lgkmcnt(0)
	s_and_b32 s1, s1, 0xffff
	s_mul_i32 s8, s8, s1
	v_add_u32_e32 v3, s8, v2
	v_mul_hi_u32 v2, v3, s15
	s_lshr_b32 s1, s0, 16
	s_and_b32 s8, s0, 0xffff
	s_mul_i32 s6, s6, s8
	v_add_u32_e32 v2, v3, v2
	v_lshrrev_b32_e32 v2, s16, v2
	v_mul_lo_u32 v4, v2, s17
	s_mul_i32 s7, s7, s1
	v_add_u32_e32 v0, s6, v0
	v_add_u32_e32 v1, s7, v1
	v_cmp_gt_u32_e32 vcc, s12, v0
	v_cmp_gt_u32_e64 s[0:1], s13, v1
	v_sub_u32_e32 v3, v3, v4
	s_and_b64 s[0:1], vcc, s[0:1]
	v_cmp_gt_u32_e32 vcc, s14, v2
	s_and_b64 s[0:1], s[0:1], vcc
	v_cmp_gt_u32_e32 vcc, s17, v3
	s_and_b64 s[0:1], s[0:1], vcc
	s_and_saveexec_b64 s[6:7], s[0:1]
	s_cbranch_execz .LBB139_6
; %bb.1:
	v_cmp_gt_i32_e32 vcc, s12, v0
	s_and_b64 exec, exec, vcc
	s_cbranch_execz .LBB139_6
; %bb.2:
	s_load_dwordx8 s[36:43], s[4:5], 0x3c
	s_load_dwordx8 s[20:27], s[4:5], 0x60
	s_load_dwordx4 s[28:31], s[4:5], 0x80
	s_load_dword s6, s[2:3], 0x0
	s_load_dword s0, s[4:5], 0x5c
	s_waitcnt lgkmcnt(0)
	v_mul_hi_u32 v4, s36, v1
	v_mul_hi_u32 v5, s39, v2
	;; [unrolled: 1-line block ×3, first 2 shown]
	v_mul_lo_u32 v7, v3, s26
	v_add_u32_e32 v4, v1, v4
	v_add_u32_e32 v5, v2, v5
	v_add_u32_e32 v6, v3, v6
	v_lshrrev_b32_e32 v4, s37, v4
	v_lshrrev_b32_e32 v5, s40, v5
	;; [unrolled: 1-line block ×3, first 2 shown]
	v_mul_lo_u32 v4, v4, s38
	v_mul_lo_u32 v5, v5, s41
	;; [unrolled: 1-line block ×5, first 2 shown]
	v_sub_u32_e32 v4, v1, v4
	v_sub_u32_e32 v5, v2, v5
	;; [unrolled: 1-line block ×3, first 2 shown]
	s_load_dword s9, s[4:5], 0x38
	s_load_dwordx2 s[0:1], s[4:5], 0x0
	s_load_dwordx2 s[2:3], s[4:5], 0x10
	v_mul_lo_u32 v6, v6, s30
	v_mul_lo_u32 v5, v5, s29
	;; [unrolled: 1-line block ×6, first 2 shown]
	v_add3_u32 v1, v8, v9, v7
	v_mov_b32_e32 v2, 0
	v_mov_b32_e32 v8, v2
	v_lshlrev_b64 v[1:2], 1, v[1:2]
	v_add3_u32 v4, v5, v6, v4
	v_add3_u32 v7, v10, v11, v3
	s_waitcnt lgkmcnt(0)
	v_mov_b32_e32 v3, s1
	v_add_co_u32_e32 v5, vcc, s0, v1
	v_addc_co_u32_e32 v6, vcc, v3, v2, vcc
	v_lshlrev_b64 v[1:2], 1, v[7:8]
	s_load_dwordx8 s[36:43], s[4:5], 0xb0
	s_load_dwordx8 s[44:51], s[4:5], 0x90
	v_mov_b32_e32 v3, s3
	v_add_co_u32_e32 v7, vcc, s2, v1
	v_addc_co_u32_e32 v8, vcc, v3, v2, vcc
	s_cmp_lg_u64 s[0:1], 0
	v_mul_lo_u32 v2, s23, v0
	s_cselect_b64 s[0:1], -1, 0
	s_mul_i32 s6, s6, s8
	v_cndmask_b32_e64 v1, 0, 1, s[0:1]
	s_mov_b64 s[4:5], 0
	s_mul_i32 s7, s6, s23
	s_sub_i32 s8, 0, s9
	v_cmp_ne_u32_e64 s[0:1], 1, v1
	s_waitcnt lgkmcnt(0)
	v_mov_b32_e32 v9, s45
	v_mov_b32_e32 v10, s47
	;; [unrolled: 1-line block ×7, first 2 shown]
	s_branch .LBB139_4
.LBB139_3:                              ;   in Loop: Header=BB139_4 Depth=1
	v_mul_hi_u32 v1, s18, v0
	v_add_u32_e32 v2, s7, v2
	v_add_u32_e32 v1, v0, v1
	v_lshrrev_b32_e32 v1, s19, v1
	v_mad_u64_u32 v[16:17], s[2:3], s8, v1, v[0:1]
	v_mul_lo_u32 v1, v16, s27
	v_add_co_u32_e32 v16, vcc, v1, v4
	v_addc_co_u32_e64 v17, s[2:3], 0, 0, vcc
	v_lshlrev_b64 v[16:17], 1, v[16:17]
	v_ashrrev_i32_e32 v1, 31, v0
	v_add_co_u32_e32 v18, vcc, s44, v16
	v_addc_co_u32_e32 v19, vcc, v9, v17, vcc
	v_add_co_u32_e32 v20, vcc, s46, v16
	v_addc_co_u32_e32 v21, vcc, v10, v17, vcc
	;; [unrolled: 2-line block ×3, first 2 shown]
	v_add_co_u32_e32 v24, vcc, s50, v16
	global_load_ushort v28, v[18:19], off
	v_addc_co_u32_e32 v25, vcc, v12, v17, vcc
	v_add_co_u32_e32 v26, vcc, s36, v16
	v_addc_co_u32_e32 v27, vcc, v13, v17, vcc
	v_add_co_u32_e32 v18, vcc, s38, v16
	v_addc_co_u32_e32 v19, vcc, v14, v17, vcc
	global_load_ushort v29, v[20:21], off
	global_load_ushort v30, v[22:23], off
	;; [unrolled: 1-line block ×4, first 2 shown]
                                        ; kill: killed $vgpr22 killed $vgpr23
                                        ; kill: killed $vgpr20 killed $vgpr21
                                        ; kill: killed $vgpr26 killed $vgpr27
                                        ; kill: killed $vgpr24 killed $vgpr25
	s_nop 0
	global_load_ushort v18, v[18:19], off
	v_add_co_u32_e32 v16, vcc, s40, v16
	v_addc_co_u32_e32 v17, vcc, v15, v17, vcc
	global_load_ushort v19, v[16:17], off
	v_lshlrev_b64 v[16:17], 1, v[0:1]
	v_add_u32_e32 v0, s6, v0
	v_cmp_le_i32_e32 vcc, s12, v0
	v_add_co_u32_e64 v16, s[2:3], v7, v16
	v_addc_co_u32_e64 v17, s[2:3], v8, v17, s[2:3]
	s_or_b64 s[4:5], vcc, s[4:5]
	s_waitcnt vmcnt(6)
	v_cvt_f32_f16_e32 v1, v28
	s_waitcnt vmcnt(5)
	v_cvt_f32_f16_e32 v20, v29
	;; [unrolled: 2-line block ×5, first 2 shown]
	v_mul_f32_e32 v1, v3, v1
	v_mul_f32_e32 v1, v1, v20
	;; [unrolled: 1-line block ×4, first 2 shown]
	s_waitcnt vmcnt(1)
	v_cvt_f32_f16_e32 v18, v18
	v_mul_f32_e32 v1, v1, v23
	v_mul_f32_e32 v1, v1, v18
	s_waitcnt vmcnt(0)
	v_fma_mixlo_f16 v1, v1, v19, 0 op_sel_hi:[0,1,0]
	global_store_short v[16:17], v1, off
	s_andn2_b64 exec, exec, s[4:5]
	s_cbranch_execz .LBB139_6
.LBB139_4:                              ; =>This Inner Loop Header: Depth=1
	s_and_b64 vcc, exec, s[0:1]
	v_mov_b32_e32 v3, 0
	s_cbranch_vccnz .LBB139_3
; %bb.5:                                ;   in Loop: Header=BB139_4 Depth=1
	v_ashrrev_i32_e32 v3, 31, v2
	v_lshlrev_b64 v[16:17], 1, v[2:3]
	v_add_co_u32_e32 v16, vcc, v5, v16
	v_addc_co_u32_e32 v17, vcc, v6, v17, vcc
	global_load_ushort v1, v[16:17], off
	s_waitcnt vmcnt(0)
	v_cvt_f32_f16_e32 v3, v1
	s_branch .LBB139_3
.LBB139_6:
	s_endpgm
	.section	.rodata,"a",@progbits
	.p2align	6, 0x0
	.amdhsa_kernel _ZL11k_bin_bcastIXadL_ZL6op_mulffEE6__halfS0_S0_JPKS0_S2_S2_S2_S2_S2_S2_EEvPKT0_PKT1_PT2_iii15HIP_vector_typeIjLj3EESC_SC_SC_SC_iiiiiiiiiiiDpT3_
		.amdhsa_group_segment_fixed_size 0
		.amdhsa_private_segment_fixed_size 0
		.amdhsa_kernarg_size 456
		.amdhsa_user_sgpr_count 6
		.amdhsa_user_sgpr_private_segment_buffer 1
		.amdhsa_user_sgpr_dispatch_ptr 0
		.amdhsa_user_sgpr_queue_ptr 0
		.amdhsa_user_sgpr_kernarg_segment_ptr 1
		.amdhsa_user_sgpr_dispatch_id 0
		.amdhsa_user_sgpr_flat_scratch_init 0
		.amdhsa_user_sgpr_private_segment_size 0
		.amdhsa_uses_dynamic_stack 0
		.amdhsa_system_sgpr_private_segment_wavefront_offset 0
		.amdhsa_system_sgpr_workgroup_id_x 1
		.amdhsa_system_sgpr_workgroup_id_y 1
		.amdhsa_system_sgpr_workgroup_id_z 1
		.amdhsa_system_sgpr_workgroup_info 0
		.amdhsa_system_vgpr_workitem_id 2
		.amdhsa_next_free_vgpr 33
		.amdhsa_next_free_sgpr 52
		.amdhsa_reserve_vcc 1
		.amdhsa_reserve_flat_scratch 0
		.amdhsa_float_round_mode_32 0
		.amdhsa_float_round_mode_16_64 0
		.amdhsa_float_denorm_mode_32 3
		.amdhsa_float_denorm_mode_16_64 3
		.amdhsa_dx10_clamp 1
		.amdhsa_ieee_mode 1
		.amdhsa_fp16_overflow 0
		.amdhsa_exception_fp_ieee_invalid_op 0
		.amdhsa_exception_fp_denorm_src 0
		.amdhsa_exception_fp_ieee_div_zero 0
		.amdhsa_exception_fp_ieee_overflow 0
		.amdhsa_exception_fp_ieee_underflow 0
		.amdhsa_exception_fp_ieee_inexact 0
		.amdhsa_exception_int_div_zero 0
	.end_amdhsa_kernel
	.section	.text._ZL11k_bin_bcastIXadL_ZL6op_mulffEE6__halfS0_S0_JPKS0_S2_S2_S2_S2_S2_S2_EEvPKT0_PKT1_PT2_iii15HIP_vector_typeIjLj3EESC_SC_SC_SC_iiiiiiiiiiiDpT3_,"axG",@progbits,_ZL11k_bin_bcastIXadL_ZL6op_mulffEE6__halfS0_S0_JPKS0_S2_S2_S2_S2_S2_S2_EEvPKT0_PKT1_PT2_iii15HIP_vector_typeIjLj3EESC_SC_SC_SC_iiiiiiiiiiiDpT3_,comdat
.Lfunc_end139:
	.size	_ZL11k_bin_bcastIXadL_ZL6op_mulffEE6__halfS0_S0_JPKS0_S2_S2_S2_S2_S2_S2_EEvPKT0_PKT1_PT2_iii15HIP_vector_typeIjLj3EESC_SC_SC_SC_iiiiiiiiiiiDpT3_, .Lfunc_end139-_ZL11k_bin_bcastIXadL_ZL6op_mulffEE6__halfS0_S0_JPKS0_S2_S2_S2_S2_S2_S2_EEvPKT0_PKT1_PT2_iii15HIP_vector_typeIjLj3EESC_SC_SC_SC_iiiiiiiiiiiDpT3_
                                        ; -- End function
	.set _ZL11k_bin_bcastIXadL_ZL6op_mulffEE6__halfS0_S0_JPKS0_S2_S2_S2_S2_S2_S2_EEvPKT0_PKT1_PT2_iii15HIP_vector_typeIjLj3EESC_SC_SC_SC_iiiiiiiiiiiDpT3_.num_vgpr, 33
	.set _ZL11k_bin_bcastIXadL_ZL6op_mulffEE6__halfS0_S0_JPKS0_S2_S2_S2_S2_S2_S2_EEvPKT0_PKT1_PT2_iii15HIP_vector_typeIjLj3EESC_SC_SC_SC_iiiiiiiiiiiDpT3_.num_agpr, 0
	.set _ZL11k_bin_bcastIXadL_ZL6op_mulffEE6__halfS0_S0_JPKS0_S2_S2_S2_S2_S2_S2_EEvPKT0_PKT1_PT2_iii15HIP_vector_typeIjLj3EESC_SC_SC_SC_iiiiiiiiiiiDpT3_.numbered_sgpr, 52
	.set _ZL11k_bin_bcastIXadL_ZL6op_mulffEE6__halfS0_S0_JPKS0_S2_S2_S2_S2_S2_S2_EEvPKT0_PKT1_PT2_iii15HIP_vector_typeIjLj3EESC_SC_SC_SC_iiiiiiiiiiiDpT3_.num_named_barrier, 0
	.set _ZL11k_bin_bcastIXadL_ZL6op_mulffEE6__halfS0_S0_JPKS0_S2_S2_S2_S2_S2_S2_EEvPKT0_PKT1_PT2_iii15HIP_vector_typeIjLj3EESC_SC_SC_SC_iiiiiiiiiiiDpT3_.private_seg_size, 0
	.set _ZL11k_bin_bcastIXadL_ZL6op_mulffEE6__halfS0_S0_JPKS0_S2_S2_S2_S2_S2_S2_EEvPKT0_PKT1_PT2_iii15HIP_vector_typeIjLj3EESC_SC_SC_SC_iiiiiiiiiiiDpT3_.uses_vcc, 1
	.set _ZL11k_bin_bcastIXadL_ZL6op_mulffEE6__halfS0_S0_JPKS0_S2_S2_S2_S2_S2_S2_EEvPKT0_PKT1_PT2_iii15HIP_vector_typeIjLj3EESC_SC_SC_SC_iiiiiiiiiiiDpT3_.uses_flat_scratch, 0
	.set _ZL11k_bin_bcastIXadL_ZL6op_mulffEE6__halfS0_S0_JPKS0_S2_S2_S2_S2_S2_S2_EEvPKT0_PKT1_PT2_iii15HIP_vector_typeIjLj3EESC_SC_SC_SC_iiiiiiiiiiiDpT3_.has_dyn_sized_stack, 0
	.set _ZL11k_bin_bcastIXadL_ZL6op_mulffEE6__halfS0_S0_JPKS0_S2_S2_S2_S2_S2_S2_EEvPKT0_PKT1_PT2_iii15HIP_vector_typeIjLj3EESC_SC_SC_SC_iiiiiiiiiiiDpT3_.has_recursion, 0
	.set _ZL11k_bin_bcastIXadL_ZL6op_mulffEE6__halfS0_S0_JPKS0_S2_S2_S2_S2_S2_S2_EEvPKT0_PKT1_PT2_iii15HIP_vector_typeIjLj3EESC_SC_SC_SC_iiiiiiiiiiiDpT3_.has_indirect_call, 0
	.section	.AMDGPU.csdata,"",@progbits
; Kernel info:
; codeLenInByte = 924
; TotalNumSgprs: 56
; NumVgprs: 33
; ScratchSize: 0
; MemoryBound: 0
; FloatMode: 240
; IeeeMode: 1
; LDSByteSize: 0 bytes/workgroup (compile time only)
; SGPRBlocks: 6
; VGPRBlocks: 8
; NumSGPRsForWavesPerEU: 56
; NumVGPRsForWavesPerEU: 33
; Occupancy: 7
; WaveLimiterHint : 1
; COMPUTE_PGM_RSRC2:SCRATCH_EN: 0
; COMPUTE_PGM_RSRC2:USER_SGPR: 6
; COMPUTE_PGM_RSRC2:TRAP_HANDLER: 0
; COMPUTE_PGM_RSRC2:TGID_X_EN: 1
; COMPUTE_PGM_RSRC2:TGID_Y_EN: 1
; COMPUTE_PGM_RSRC2:TGID_Z_EN: 1
; COMPUTE_PGM_RSRC2:TIDIG_COMP_CNT: 2
	.section	.text._ZL19k_bin_bcast_unravelIXadL_ZL6op_mulffEE6__halffS0_JPKfS2_S2_S2_S2_S2_S2_EEvPKT0_PKT1_PT2_15HIP_vector_typeIjLj3EESC_SC_jSC_SC_SC_SC_SC_SC_iiiiiiiiiiiDpT3_,"axG",@progbits,_ZL19k_bin_bcast_unravelIXadL_ZL6op_mulffEE6__halffS0_JPKfS2_S2_S2_S2_S2_S2_EEvPKT0_PKT1_PT2_15HIP_vector_typeIjLj3EESC_SC_jSC_SC_SC_SC_SC_SC_iiiiiiiiiiiDpT3_,comdat
	.globl	_ZL19k_bin_bcast_unravelIXadL_ZL6op_mulffEE6__halffS0_JPKfS2_S2_S2_S2_S2_S2_EEvPKT0_PKT1_PT2_15HIP_vector_typeIjLj3EESC_SC_jSC_SC_SC_SC_SC_SC_iiiiiiiiiiiDpT3_ ; -- Begin function _ZL19k_bin_bcast_unravelIXadL_ZL6op_mulffEE6__halffS0_JPKfS2_S2_S2_S2_S2_S2_EEvPKT0_PKT1_PT2_15HIP_vector_typeIjLj3EESC_SC_jSC_SC_SC_SC_SC_SC_iiiiiiiiiiiDpT3_
	.p2align	8
	.type	_ZL19k_bin_bcast_unravelIXadL_ZL6op_mulffEE6__halffS0_JPKfS2_S2_S2_S2_S2_S2_EEvPKT0_PKT1_PT2_15HIP_vector_typeIjLj3EESC_SC_jSC_SC_SC_SC_SC_SC_iiiiiiiiiiiDpT3_,@function
_ZL19k_bin_bcast_unravelIXadL_ZL6op_mulffEE6__halffS0_JPKfS2_S2_S2_S2_S2_S2_EEvPKT0_PKT1_PT2_15HIP_vector_typeIjLj3EESC_SC_jSC_SC_SC_SC_SC_SC_iiiiiiiiiiiDpT3_: ; @_ZL19k_bin_bcast_unravelIXadL_ZL6op_mulffEE6__halffS0_JPKfS2_S2_S2_S2_S2_S2_EEvPKT0_PKT1_PT2_15HIP_vector_typeIjLj3EESC_SC_jSC_SC_SC_SC_SC_SC_iiiiiiiiiiiDpT3_
; %bb.0:
	s_load_dword s0, s[4:5], 0xfc
	s_load_dwordx8 s[8:15], s[4:5], 0x38
	s_waitcnt lgkmcnt(0)
	s_and_b32 s0, s0, 0xffff
	s_mul_i32 s6, s6, s0
	v_add_u32_e32 v0, s6, v0
	v_mul_hi_u32 v1, v0, s10
	s_load_dwordx4 s[0:3], s[4:5], 0x18
	s_waitcnt lgkmcnt(0)
	s_load_dword s3, s[4:5], 0x2c
	v_add_u32_e32 v1, v0, v1
	v_lshrrev_b32_e32 v1, s11, v1
	v_mul_lo_u32 v2, v1, s12
	v_sub_u32_e32 v0, v0, v2
	v_mul_hi_u32 v2, v0, s13
	v_add_u32_e32 v2, v0, v2
	v_lshrrev_b32_e32 v3, s14, v2
	v_mul_lo_u32 v2, v3, s15
	v_cmp_gt_u32_e32 vcc, s8, v3
	v_sub_u32_e32 v0, v0, v2
	v_mul_hi_u32 v2, v0, s0
	v_add_u32_e32 v2, v0, v2
	v_lshrrev_b32_e32 v4, s1, v2
	v_mul_lo_u32 v2, v4, s2
	s_waitcnt lgkmcnt(0)
	v_cmp_gt_u32_e64 s[0:1], s3, v4
	v_sub_u32_e32 v0, v0, v2
	v_cmp_gt_u32_e64 s[2:3], s2, v0
	s_and_b64 s[0:1], s[2:3], s[0:1]
	s_and_b64 s[0:1], s[0:1], vcc
	v_cmp_gt_u32_e32 vcc, s9, v1
	s_and_b64 s[0:1], vcc, s[0:1]
	s_and_saveexec_b64 s[2:3], s[0:1]
	s_cbranch_execz .LBB140_4
; %bb.1:
	s_load_dwordx2 s[6:7], s[4:5], 0x0
	s_load_dwordx4 s[0:3], s[4:5], 0xa8
	s_load_dwordx8 s[8:15], s[4:5], 0x88
	s_load_dwordx4 s[24:27], s[4:5], 0x78
	s_load_dwordx8 s[16:23], s[4:5], 0x58
	v_mov_b32_e32 v2, 0
	s_waitcnt lgkmcnt(0)
	s_cmp_eq_u64 s[6:7], 0
	v_mov_b32_e32 v5, 0
	s_cbranch_scc1 .LBB140_3
; %bb.2:
	v_mul_lo_u32 v5, v1, s14
	v_mul_lo_u32 v7, v3, s13
	;; [unrolled: 1-line block ×3, first 2 shown]
	v_mov_b32_e32 v6, 0
	v_mov_b32_e32 v9, s7
	v_add3_u32 v5, v7, v5, v8
	v_lshlrev_b64 v[7:8], 1, v[5:6]
	v_mul_lo_u32 v5, v0, s11
	v_add_co_u32_e32 v7, vcc, s6, v7
	v_addc_co_u32_e32 v8, vcc, v9, v8, vcc
	v_lshlrev_b64 v[5:6], 1, v[5:6]
	v_add_co_u32_e32 v5, vcc, v7, v5
	v_addc_co_u32_e32 v6, vcc, v8, v6, vcc
	global_load_ushort v5, v[5:6], off
	s_waitcnt vmcnt(0)
	v_cvt_f32_f16_e32 v5, v5
.LBB140_3:
	v_mul_hi_u32 v6, s19, v4
	v_mul_hi_u32 v7, s22, v3
	;; [unrolled: 1-line block ×4, first 2 shown]
	v_add_u32_e32 v6, v4, v6
	v_add_u32_e32 v7, v3, v7
	;; [unrolled: 1-line block ×3, first 2 shown]
	v_lshrrev_b32_e32 v6, s20, v6
	v_lshrrev_b32_e32 v7, s23, v7
	;; [unrolled: 1-line block ×3, first 2 shown]
	v_mul_lo_u32 v6, v6, s21
	v_mul_lo_u32 v7, v7, s24
	;; [unrolled: 1-line block ×3, first 2 shown]
	v_add_u32_e32 v9, v0, v9
	v_sub_u32_e32 v6, v4, v6
	v_sub_u32_e32 v7, v3, v7
	;; [unrolled: 1-line block ×3, first 2 shown]
	v_lshrrev_b32_e32 v9, s17, v9
	v_mul_lo_u32 v8, v8, s2
	v_mul_lo_u32 v7, v7, s1
	;; [unrolled: 1-line block ×5, first 2 shown]
	v_add3_u32 v6, v7, v8, v6
	v_sub_u32_e32 v8, v0, v9
	v_mul_lo_u32 v8, v8, s15
	s_load_dwordx2 s[6:7], s[4:5], 0xe8
	s_load_dwordx4 s[0:3], s[4:5], 0xd8
	s_load_dwordx8 s[12:19], s[4:5], 0xb8
	v_ashrrev_i32_e32 v7, 31, v6
	v_ashrrev_i32_e32 v9, 31, v8
	v_add_co_u32_e32 v6, vcc, v8, v6
	v_addc_co_u32_e32 v7, vcc, v9, v7, vcc
	v_lshlrev_b64 v[6:7], 2, v[6:7]
	s_waitcnt lgkmcnt(0)
	v_mov_b32_e32 v9, s13
	v_add_co_u32_e32 v8, vcc, s12, v6
	v_addc_co_u32_e32 v9, vcc, v9, v7, vcc
	global_load_dword v10, v[8:9], off
	v_mov_b32_e32 v9, s15
	v_add_co_u32_e32 v8, vcc, s14, v6
	v_addc_co_u32_e32 v9, vcc, v9, v7, vcc
	global_load_dword v11, v[8:9], off
	;; [unrolled: 4-line block ×7, first 2 shown]
	v_mul_lo_u32 v7, v1, s10
	v_mul_lo_u32 v9, v3, s9
	s_load_dwordx2 s[0:1], s[4:5], 0x10
	v_mov_b32_e32 v1, v2
	v_lshlrev_b64 v[3:4], 1, v[0:1]
	v_add3_u32 v1, v9, v7, v15
	v_lshlrev_b64 v[0:1], 1, v[1:2]
	s_waitcnt lgkmcnt(0)
	v_mov_b32_e32 v2, s1
	v_add_co_u32_e32 v0, vcc, s0, v0
	v_addc_co_u32_e32 v1, vcc, v2, v1, vcc
	v_add_co_u32_e32 v0, vcc, v0, v3
	v_addc_co_u32_e32 v1, vcc, v1, v4, vcc
	s_waitcnt vmcnt(6)
	v_mul_f32_e32 v2, v5, v10
	s_waitcnt vmcnt(5)
	v_mul_f32_e32 v2, v2, v11
	;; [unrolled: 2-line block ×6, first 2 shown]
	s_waitcnt vmcnt(0)
	v_fma_mixlo_f16 v2, v2, v6, 0
	global_store_short v[0:1], v2, off
.LBB140_4:
	s_endpgm
	.section	.rodata,"a",@progbits
	.p2align	6, 0x0
	.amdhsa_kernel _ZL19k_bin_bcast_unravelIXadL_ZL6op_mulffEE6__halffS0_JPKfS2_S2_S2_S2_S2_S2_EEvPKT0_PKT1_PT2_15HIP_vector_typeIjLj3EESC_SC_jSC_SC_SC_SC_SC_SC_iiiiiiiiiiiDpT3_
		.amdhsa_group_segment_fixed_size 0
		.amdhsa_private_segment_fixed_size 0
		.amdhsa_kernarg_size 496
		.amdhsa_user_sgpr_count 6
		.amdhsa_user_sgpr_private_segment_buffer 1
		.amdhsa_user_sgpr_dispatch_ptr 0
		.amdhsa_user_sgpr_queue_ptr 0
		.amdhsa_user_sgpr_kernarg_segment_ptr 1
		.amdhsa_user_sgpr_dispatch_id 0
		.amdhsa_user_sgpr_flat_scratch_init 0
		.amdhsa_user_sgpr_private_segment_size 0
		.amdhsa_uses_dynamic_stack 0
		.amdhsa_system_sgpr_private_segment_wavefront_offset 0
		.amdhsa_system_sgpr_workgroup_id_x 1
		.amdhsa_system_sgpr_workgroup_id_y 0
		.amdhsa_system_sgpr_workgroup_id_z 0
		.amdhsa_system_sgpr_workgroup_info 0
		.amdhsa_system_vgpr_workitem_id 0
		.amdhsa_next_free_vgpr 16
		.amdhsa_next_free_sgpr 28
		.amdhsa_reserve_vcc 1
		.amdhsa_reserve_flat_scratch 0
		.amdhsa_float_round_mode_32 0
		.amdhsa_float_round_mode_16_64 0
		.amdhsa_float_denorm_mode_32 3
		.amdhsa_float_denorm_mode_16_64 3
		.amdhsa_dx10_clamp 1
		.amdhsa_ieee_mode 1
		.amdhsa_fp16_overflow 0
		.amdhsa_exception_fp_ieee_invalid_op 0
		.amdhsa_exception_fp_denorm_src 0
		.amdhsa_exception_fp_ieee_div_zero 0
		.amdhsa_exception_fp_ieee_overflow 0
		.amdhsa_exception_fp_ieee_underflow 0
		.amdhsa_exception_fp_ieee_inexact 0
		.amdhsa_exception_int_div_zero 0
	.end_amdhsa_kernel
	.section	.text._ZL19k_bin_bcast_unravelIXadL_ZL6op_mulffEE6__halffS0_JPKfS2_S2_S2_S2_S2_S2_EEvPKT0_PKT1_PT2_15HIP_vector_typeIjLj3EESC_SC_jSC_SC_SC_SC_SC_SC_iiiiiiiiiiiDpT3_,"axG",@progbits,_ZL19k_bin_bcast_unravelIXadL_ZL6op_mulffEE6__halffS0_JPKfS2_S2_S2_S2_S2_S2_EEvPKT0_PKT1_PT2_15HIP_vector_typeIjLj3EESC_SC_jSC_SC_SC_SC_SC_SC_iiiiiiiiiiiDpT3_,comdat
.Lfunc_end140:
	.size	_ZL19k_bin_bcast_unravelIXadL_ZL6op_mulffEE6__halffS0_JPKfS2_S2_S2_S2_S2_S2_EEvPKT0_PKT1_PT2_15HIP_vector_typeIjLj3EESC_SC_jSC_SC_SC_SC_SC_SC_iiiiiiiiiiiDpT3_, .Lfunc_end140-_ZL19k_bin_bcast_unravelIXadL_ZL6op_mulffEE6__halffS0_JPKfS2_S2_S2_S2_S2_S2_EEvPKT0_PKT1_PT2_15HIP_vector_typeIjLj3EESC_SC_jSC_SC_SC_SC_SC_SC_iiiiiiiiiiiDpT3_
                                        ; -- End function
	.set _ZL19k_bin_bcast_unravelIXadL_ZL6op_mulffEE6__halffS0_JPKfS2_S2_S2_S2_S2_S2_EEvPKT0_PKT1_PT2_15HIP_vector_typeIjLj3EESC_SC_jSC_SC_SC_SC_SC_SC_iiiiiiiiiiiDpT3_.num_vgpr, 16
	.set _ZL19k_bin_bcast_unravelIXadL_ZL6op_mulffEE6__halffS0_JPKfS2_S2_S2_S2_S2_S2_EEvPKT0_PKT1_PT2_15HIP_vector_typeIjLj3EESC_SC_jSC_SC_SC_SC_SC_SC_iiiiiiiiiiiDpT3_.num_agpr, 0
	.set _ZL19k_bin_bcast_unravelIXadL_ZL6op_mulffEE6__halffS0_JPKfS2_S2_S2_S2_S2_S2_EEvPKT0_PKT1_PT2_15HIP_vector_typeIjLj3EESC_SC_jSC_SC_SC_SC_SC_SC_iiiiiiiiiiiDpT3_.numbered_sgpr, 28
	.set _ZL19k_bin_bcast_unravelIXadL_ZL6op_mulffEE6__halffS0_JPKfS2_S2_S2_S2_S2_S2_EEvPKT0_PKT1_PT2_15HIP_vector_typeIjLj3EESC_SC_jSC_SC_SC_SC_SC_SC_iiiiiiiiiiiDpT3_.num_named_barrier, 0
	.set _ZL19k_bin_bcast_unravelIXadL_ZL6op_mulffEE6__halffS0_JPKfS2_S2_S2_S2_S2_S2_EEvPKT0_PKT1_PT2_15HIP_vector_typeIjLj3EESC_SC_jSC_SC_SC_SC_SC_SC_iiiiiiiiiiiDpT3_.private_seg_size, 0
	.set _ZL19k_bin_bcast_unravelIXadL_ZL6op_mulffEE6__halffS0_JPKfS2_S2_S2_S2_S2_S2_EEvPKT0_PKT1_PT2_15HIP_vector_typeIjLj3EESC_SC_jSC_SC_SC_SC_SC_SC_iiiiiiiiiiiDpT3_.uses_vcc, 1
	.set _ZL19k_bin_bcast_unravelIXadL_ZL6op_mulffEE6__halffS0_JPKfS2_S2_S2_S2_S2_S2_EEvPKT0_PKT1_PT2_15HIP_vector_typeIjLj3EESC_SC_jSC_SC_SC_SC_SC_SC_iiiiiiiiiiiDpT3_.uses_flat_scratch, 0
	.set _ZL19k_bin_bcast_unravelIXadL_ZL6op_mulffEE6__halffS0_JPKfS2_S2_S2_S2_S2_S2_EEvPKT0_PKT1_PT2_15HIP_vector_typeIjLj3EESC_SC_jSC_SC_SC_SC_SC_SC_iiiiiiiiiiiDpT3_.has_dyn_sized_stack, 0
	.set _ZL19k_bin_bcast_unravelIXadL_ZL6op_mulffEE6__halffS0_JPKfS2_S2_S2_S2_S2_S2_EEvPKT0_PKT1_PT2_15HIP_vector_typeIjLj3EESC_SC_jSC_SC_SC_SC_SC_SC_iiiiiiiiiiiDpT3_.has_recursion, 0
	.set _ZL19k_bin_bcast_unravelIXadL_ZL6op_mulffEE6__halffS0_JPKfS2_S2_S2_S2_S2_S2_EEvPKT0_PKT1_PT2_15HIP_vector_typeIjLj3EESC_SC_jSC_SC_SC_SC_SC_SC_iiiiiiiiiiiDpT3_.has_indirect_call, 0
	.section	.AMDGPU.csdata,"",@progbits
; Kernel info:
; codeLenInByte = 844
; TotalNumSgprs: 32
; NumVgprs: 16
; ScratchSize: 0
; MemoryBound: 0
; FloatMode: 240
; IeeeMode: 1
; LDSByteSize: 0 bytes/workgroup (compile time only)
; SGPRBlocks: 3
; VGPRBlocks: 3
; NumSGPRsForWavesPerEU: 32
; NumVGPRsForWavesPerEU: 16
; Occupancy: 10
; WaveLimiterHint : 1
; COMPUTE_PGM_RSRC2:SCRATCH_EN: 0
; COMPUTE_PGM_RSRC2:USER_SGPR: 6
; COMPUTE_PGM_RSRC2:TRAP_HANDLER: 0
; COMPUTE_PGM_RSRC2:TGID_X_EN: 1
; COMPUTE_PGM_RSRC2:TGID_Y_EN: 0
; COMPUTE_PGM_RSRC2:TGID_Z_EN: 0
; COMPUTE_PGM_RSRC2:TIDIG_COMP_CNT: 0
	.section	.text._ZL11k_bin_bcastIXadL_ZL6op_mulffEE6__halffS0_JPKfS2_S2_S2_S2_S2_S2_EEvPKT0_PKT1_PT2_iii15HIP_vector_typeIjLj3EESC_SC_SC_SC_iiiiiiiiiiiDpT3_,"axG",@progbits,_ZL11k_bin_bcastIXadL_ZL6op_mulffEE6__halffS0_JPKfS2_S2_S2_S2_S2_S2_EEvPKT0_PKT1_PT2_iii15HIP_vector_typeIjLj3EESC_SC_SC_SC_iiiiiiiiiiiDpT3_,comdat
	.globl	_ZL11k_bin_bcastIXadL_ZL6op_mulffEE6__halffS0_JPKfS2_S2_S2_S2_S2_S2_EEvPKT0_PKT1_PT2_iii15HIP_vector_typeIjLj3EESC_SC_SC_SC_iiiiiiiiiiiDpT3_ ; -- Begin function _ZL11k_bin_bcastIXadL_ZL6op_mulffEE6__halffS0_JPKfS2_S2_S2_S2_S2_S2_EEvPKT0_PKT1_PT2_iii15HIP_vector_typeIjLj3EESC_SC_SC_SC_iiiiiiiiiiiDpT3_
	.p2align	8
	.type	_ZL11k_bin_bcastIXadL_ZL6op_mulffEE6__halffS0_JPKfS2_S2_S2_S2_S2_S2_EEvPKT0_PKT1_PT2_iii15HIP_vector_typeIjLj3EESC_SC_SC_SC_iiiiiiiiiiiDpT3_,@function
_ZL11k_bin_bcastIXadL_ZL6op_mulffEE6__halffS0_JPKfS2_S2_S2_S2_S2_S2_EEvPKT0_PKT1_PT2_iii15HIP_vector_typeIjLj3EESC_SC_SC_SC_iiiiiiiiiiiDpT3_: ; @_ZL11k_bin_bcastIXadL_ZL6op_mulffEE6__halffS0_JPKfS2_S2_S2_S2_S2_S2_EEvPKT0_PKT1_PT2_iii15HIP_vector_typeIjLj3EESC_SC_SC_SC_iiiiiiiiiiiDpT3_
; %bb.0:
	s_load_dwordx2 s[0:1], s[4:5], 0xd4
	s_load_dwordx8 s[12:19], s[4:5], 0x18
	s_add_u32 s2, s4, 0xc8
	s_addc_u32 s3, s5, 0
	s_waitcnt lgkmcnt(0)
	s_and_b32 s1, s1, 0xffff
	s_mul_i32 s8, s8, s1
	v_add_u32_e32 v3, s8, v2
	v_mul_hi_u32 v2, v3, s15
	s_lshr_b32 s1, s0, 16
	s_and_b32 s8, s0, 0xffff
	s_mul_i32 s6, s6, s8
	v_add_u32_e32 v2, v3, v2
	v_lshrrev_b32_e32 v2, s16, v2
	v_mul_lo_u32 v4, v2, s17
	s_mul_i32 s7, s7, s1
	v_add_u32_e32 v0, s6, v0
	v_add_u32_e32 v1, s7, v1
	v_cmp_gt_u32_e32 vcc, s12, v0
	v_cmp_gt_u32_e64 s[0:1], s13, v1
	v_sub_u32_e32 v3, v3, v4
	s_and_b64 s[0:1], vcc, s[0:1]
	v_cmp_gt_u32_e32 vcc, s14, v2
	s_and_b64 s[0:1], s[0:1], vcc
	v_cmp_gt_u32_e32 vcc, s17, v3
	s_and_b64 s[0:1], s[0:1], vcc
	s_and_saveexec_b64 s[6:7], s[0:1]
	s_cbranch_execz .LBB141_6
; %bb.1:
	v_cmp_gt_i32_e32 vcc, s12, v0
	s_and_b64 exec, exec, vcc
	s_cbranch_execz .LBB141_6
; %bb.2:
	s_load_dwordx8 s[36:43], s[4:5], 0x3c
	s_load_dwordx8 s[20:27], s[4:5], 0x60
	s_load_dwordx4 s[28:31], s[4:5], 0x80
	s_load_dword s6, s[2:3], 0x0
	s_load_dword s0, s[4:5], 0x5c
	s_waitcnt lgkmcnt(0)
	v_mul_hi_u32 v4, s36, v1
	v_mul_hi_u32 v5, s39, v2
	;; [unrolled: 1-line block ×3, first 2 shown]
	v_mul_lo_u32 v7, v3, s26
	v_add_u32_e32 v4, v1, v4
	v_add_u32_e32 v5, v2, v5
	;; [unrolled: 1-line block ×3, first 2 shown]
	v_lshrrev_b32_e32 v4, s37, v4
	v_lshrrev_b32_e32 v5, s40, v5
	;; [unrolled: 1-line block ×3, first 2 shown]
	v_mul_lo_u32 v4, v4, s38
	v_mul_lo_u32 v5, v5, s41
	;; [unrolled: 1-line block ×5, first 2 shown]
	v_sub_u32_e32 v4, v1, v4
	v_sub_u32_e32 v5, v2, v5
	;; [unrolled: 1-line block ×3, first 2 shown]
	s_load_dword s9, s[4:5], 0x38
	s_load_dwordx2 s[0:1], s[4:5], 0x0
	s_load_dwordx2 s[2:3], s[4:5], 0x10
	v_mul_lo_u32 v6, v6, s30
	v_mul_lo_u32 v5, v5, s29
	;; [unrolled: 1-line block ×6, first 2 shown]
	v_add3_u32 v1, v8, v9, v7
	v_mov_b32_e32 v2, 0
	v_mov_b32_e32 v8, v2
	v_lshlrev_b64 v[1:2], 1, v[1:2]
	v_add3_u32 v4, v5, v6, v4
	v_add3_u32 v7, v10, v11, v3
	s_waitcnt lgkmcnt(0)
	v_mov_b32_e32 v3, s1
	v_add_co_u32_e32 v5, vcc, s0, v1
	v_addc_co_u32_e32 v6, vcc, v3, v2, vcc
	v_lshlrev_b64 v[1:2], 1, v[7:8]
	s_load_dwordx8 s[36:43], s[4:5], 0xb0
	s_load_dwordx8 s[44:51], s[4:5], 0x90
	v_mov_b32_e32 v3, s3
	v_add_co_u32_e32 v7, vcc, s2, v1
	v_addc_co_u32_e32 v8, vcc, v3, v2, vcc
	s_cmp_lg_u64 s[0:1], 0
	v_mul_lo_u32 v2, s23, v0
	s_cselect_b64 s[0:1], -1, 0
	s_mul_i32 s6, s6, s8
	v_cndmask_b32_e64 v1, 0, 1, s[0:1]
	s_mov_b64 s[4:5], 0
	s_mul_i32 s7, s6, s23
	s_sub_i32 s8, 0, s9
	v_cmp_ne_u32_e64 s[0:1], 1, v1
	s_waitcnt lgkmcnt(0)
	v_mov_b32_e32 v9, s45
	v_mov_b32_e32 v10, s47
	;; [unrolled: 1-line block ×7, first 2 shown]
	s_branch .LBB141_4
.LBB141_3:                              ;   in Loop: Header=BB141_4 Depth=1
	v_mul_hi_u32 v1, s18, v0
	v_add_u32_e32 v2, s7, v2
	v_add_u32_e32 v1, v0, v1
	v_lshrrev_b32_e32 v1, s19, v1
	v_mad_u64_u32 v[16:17], s[2:3], s8, v1, v[0:1]
	v_mul_lo_u32 v1, v16, s27
	v_add_co_u32_e32 v16, vcc, v1, v4
	v_addc_co_u32_e64 v17, s[2:3], 0, 0, vcc
	v_lshlrev_b64 v[16:17], 2, v[16:17]
	v_ashrrev_i32_e32 v1, 31, v0
	v_add_co_u32_e32 v18, vcc, s44, v16
	v_addc_co_u32_e32 v19, vcc, v9, v17, vcc
	v_add_co_u32_e32 v20, vcc, s46, v16
	v_addc_co_u32_e32 v21, vcc, v10, v17, vcc
	;; [unrolled: 2-line block ×7, first 2 shown]
	global_load_dword v30, v[18:19], off
	global_load_dword v31, v[20:21], off
	;; [unrolled: 1-line block ×3, first 2 shown]
                                        ; kill: killed $vgpr20 killed $vgpr21
                                        ; kill: killed $vgpr22 killed $vgpr23
                                        ; kill: killed $vgpr18 killed $vgpr19
	s_nop 0
	global_load_dword v18, v[24:25], off
	global_load_dword v19, v[26:27], off
	;; [unrolled: 1-line block ×4, first 2 shown]
	v_lshlrev_b64 v[16:17], 1, v[0:1]
	v_add_u32_e32 v0, s6, v0
	v_cmp_le_i32_e32 vcc, s12, v0
	v_add_co_u32_e64 v16, s[2:3], v7, v16
	v_addc_co_u32_e64 v17, s[2:3], v8, v17, s[2:3]
	s_or_b64 s[4:5], vcc, s[4:5]
	s_waitcnt vmcnt(6)
	v_mul_f32_e32 v1, v3, v30
	s_waitcnt vmcnt(5)
	v_mul_f32_e32 v1, v1, v31
	;; [unrolled: 2-line block ×6, first 2 shown]
	s_waitcnt vmcnt(0)
	v_fma_mixlo_f16 v1, v1, v21, 0
	global_store_short v[16:17], v1, off
	s_andn2_b64 exec, exec, s[4:5]
	s_cbranch_execz .LBB141_6
.LBB141_4:                              ; =>This Inner Loop Header: Depth=1
	s_and_b64 vcc, exec, s[0:1]
	v_mov_b32_e32 v3, 0
	s_cbranch_vccnz .LBB141_3
; %bb.5:                                ;   in Loop: Header=BB141_4 Depth=1
	v_ashrrev_i32_e32 v3, 31, v2
	v_lshlrev_b64 v[16:17], 1, v[2:3]
	v_add_co_u32_e32 v16, vcc, v5, v16
	v_addc_co_u32_e32 v17, vcc, v6, v17, vcc
	global_load_ushort v1, v[16:17], off
	s_waitcnt vmcnt(0)
	v_cvt_f32_f16_e32 v3, v1
	s_branch .LBB141_3
.LBB141_6:
	s_endpgm
	.section	.rodata,"a",@progbits
	.p2align	6, 0x0
	.amdhsa_kernel _ZL11k_bin_bcastIXadL_ZL6op_mulffEE6__halffS0_JPKfS2_S2_S2_S2_S2_S2_EEvPKT0_PKT1_PT2_iii15HIP_vector_typeIjLj3EESC_SC_SC_SC_iiiiiiiiiiiDpT3_
		.amdhsa_group_segment_fixed_size 0
		.amdhsa_private_segment_fixed_size 0
		.amdhsa_kernarg_size 456
		.amdhsa_user_sgpr_count 6
		.amdhsa_user_sgpr_private_segment_buffer 1
		.amdhsa_user_sgpr_dispatch_ptr 0
		.amdhsa_user_sgpr_queue_ptr 0
		.amdhsa_user_sgpr_kernarg_segment_ptr 1
		.amdhsa_user_sgpr_dispatch_id 0
		.amdhsa_user_sgpr_flat_scratch_init 0
		.amdhsa_user_sgpr_private_segment_size 0
		.amdhsa_uses_dynamic_stack 0
		.amdhsa_system_sgpr_private_segment_wavefront_offset 0
		.amdhsa_system_sgpr_workgroup_id_x 1
		.amdhsa_system_sgpr_workgroup_id_y 1
		.amdhsa_system_sgpr_workgroup_id_z 1
		.amdhsa_system_sgpr_workgroup_info 0
		.amdhsa_system_vgpr_workitem_id 2
		.amdhsa_next_free_vgpr 33
		.amdhsa_next_free_sgpr 52
		.amdhsa_reserve_vcc 1
		.amdhsa_reserve_flat_scratch 0
		.amdhsa_float_round_mode_32 0
		.amdhsa_float_round_mode_16_64 0
		.amdhsa_float_denorm_mode_32 3
		.amdhsa_float_denorm_mode_16_64 3
		.amdhsa_dx10_clamp 1
		.amdhsa_ieee_mode 1
		.amdhsa_fp16_overflow 0
		.amdhsa_exception_fp_ieee_invalid_op 0
		.amdhsa_exception_fp_denorm_src 0
		.amdhsa_exception_fp_ieee_div_zero 0
		.amdhsa_exception_fp_ieee_overflow 0
		.amdhsa_exception_fp_ieee_underflow 0
		.amdhsa_exception_fp_ieee_inexact 0
		.amdhsa_exception_int_div_zero 0
	.end_amdhsa_kernel
	.section	.text._ZL11k_bin_bcastIXadL_ZL6op_mulffEE6__halffS0_JPKfS2_S2_S2_S2_S2_S2_EEvPKT0_PKT1_PT2_iii15HIP_vector_typeIjLj3EESC_SC_SC_SC_iiiiiiiiiiiDpT3_,"axG",@progbits,_ZL11k_bin_bcastIXadL_ZL6op_mulffEE6__halffS0_JPKfS2_S2_S2_S2_S2_S2_EEvPKT0_PKT1_PT2_iii15HIP_vector_typeIjLj3EESC_SC_SC_SC_iiiiiiiiiiiDpT3_,comdat
.Lfunc_end141:
	.size	_ZL11k_bin_bcastIXadL_ZL6op_mulffEE6__halffS0_JPKfS2_S2_S2_S2_S2_S2_EEvPKT0_PKT1_PT2_iii15HIP_vector_typeIjLj3EESC_SC_SC_SC_iiiiiiiiiiiDpT3_, .Lfunc_end141-_ZL11k_bin_bcastIXadL_ZL6op_mulffEE6__halffS0_JPKfS2_S2_S2_S2_S2_S2_EEvPKT0_PKT1_PT2_iii15HIP_vector_typeIjLj3EESC_SC_SC_SC_iiiiiiiiiiiDpT3_
                                        ; -- End function
	.set _ZL11k_bin_bcastIXadL_ZL6op_mulffEE6__halffS0_JPKfS2_S2_S2_S2_S2_S2_EEvPKT0_PKT1_PT2_iii15HIP_vector_typeIjLj3EESC_SC_SC_SC_iiiiiiiiiiiDpT3_.num_vgpr, 33
	.set _ZL11k_bin_bcastIXadL_ZL6op_mulffEE6__halffS0_JPKfS2_S2_S2_S2_S2_S2_EEvPKT0_PKT1_PT2_iii15HIP_vector_typeIjLj3EESC_SC_SC_SC_iiiiiiiiiiiDpT3_.num_agpr, 0
	.set _ZL11k_bin_bcastIXadL_ZL6op_mulffEE6__halffS0_JPKfS2_S2_S2_S2_S2_S2_EEvPKT0_PKT1_PT2_iii15HIP_vector_typeIjLj3EESC_SC_SC_SC_iiiiiiiiiiiDpT3_.numbered_sgpr, 52
	.set _ZL11k_bin_bcastIXadL_ZL6op_mulffEE6__halffS0_JPKfS2_S2_S2_S2_S2_S2_EEvPKT0_PKT1_PT2_iii15HIP_vector_typeIjLj3EESC_SC_SC_SC_iiiiiiiiiiiDpT3_.num_named_barrier, 0
	.set _ZL11k_bin_bcastIXadL_ZL6op_mulffEE6__halffS0_JPKfS2_S2_S2_S2_S2_S2_EEvPKT0_PKT1_PT2_iii15HIP_vector_typeIjLj3EESC_SC_SC_SC_iiiiiiiiiiiDpT3_.private_seg_size, 0
	.set _ZL11k_bin_bcastIXadL_ZL6op_mulffEE6__halffS0_JPKfS2_S2_S2_S2_S2_S2_EEvPKT0_PKT1_PT2_iii15HIP_vector_typeIjLj3EESC_SC_SC_SC_iiiiiiiiiiiDpT3_.uses_vcc, 1
	.set _ZL11k_bin_bcastIXadL_ZL6op_mulffEE6__halffS0_JPKfS2_S2_S2_S2_S2_S2_EEvPKT0_PKT1_PT2_iii15HIP_vector_typeIjLj3EESC_SC_SC_SC_iiiiiiiiiiiDpT3_.uses_flat_scratch, 0
	.set _ZL11k_bin_bcastIXadL_ZL6op_mulffEE6__halffS0_JPKfS2_S2_S2_S2_S2_S2_EEvPKT0_PKT1_PT2_iii15HIP_vector_typeIjLj3EESC_SC_SC_SC_iiiiiiiiiiiDpT3_.has_dyn_sized_stack, 0
	.set _ZL11k_bin_bcastIXadL_ZL6op_mulffEE6__halffS0_JPKfS2_S2_S2_S2_S2_S2_EEvPKT0_PKT1_PT2_iii15HIP_vector_typeIjLj3EESC_SC_SC_SC_iiiiiiiiiiiDpT3_.has_recursion, 0
	.set _ZL11k_bin_bcastIXadL_ZL6op_mulffEE6__halffS0_JPKfS2_S2_S2_S2_S2_S2_EEvPKT0_PKT1_PT2_iii15HIP_vector_typeIjLj3EESC_SC_SC_SC_iiiiiiiiiiiDpT3_.has_indirect_call, 0
	.section	.AMDGPU.csdata,"",@progbits
; Kernel info:
; codeLenInByte = 900
; TotalNumSgprs: 56
; NumVgprs: 33
; ScratchSize: 0
; MemoryBound: 0
; FloatMode: 240
; IeeeMode: 1
; LDSByteSize: 0 bytes/workgroup (compile time only)
; SGPRBlocks: 6
; VGPRBlocks: 8
; NumSGPRsForWavesPerEU: 56
; NumVGPRsForWavesPerEU: 33
; Occupancy: 7
; WaveLimiterHint : 1
; COMPUTE_PGM_RSRC2:SCRATCH_EN: 0
; COMPUTE_PGM_RSRC2:USER_SGPR: 6
; COMPUTE_PGM_RSRC2:TRAP_HANDLER: 0
; COMPUTE_PGM_RSRC2:TGID_X_EN: 1
; COMPUTE_PGM_RSRC2:TGID_Y_EN: 1
; COMPUTE_PGM_RSRC2:TGID_Z_EN: 1
; COMPUTE_PGM_RSRC2:TIDIG_COMP_CNT: 2
	.section	.text._ZL19k_bin_bcast_unravelIXadL_ZL6op_mulffEE6__halfffJPKfS2_S2_S2_S2_S2_S2_EEvPKT0_PKT1_PT2_15HIP_vector_typeIjLj3EESC_SC_jSC_SC_SC_SC_SC_SC_iiiiiiiiiiiDpT3_,"axG",@progbits,_ZL19k_bin_bcast_unravelIXadL_ZL6op_mulffEE6__halfffJPKfS2_S2_S2_S2_S2_S2_EEvPKT0_PKT1_PT2_15HIP_vector_typeIjLj3EESC_SC_jSC_SC_SC_SC_SC_SC_iiiiiiiiiiiDpT3_,comdat
	.globl	_ZL19k_bin_bcast_unravelIXadL_ZL6op_mulffEE6__halfffJPKfS2_S2_S2_S2_S2_S2_EEvPKT0_PKT1_PT2_15HIP_vector_typeIjLj3EESC_SC_jSC_SC_SC_SC_SC_SC_iiiiiiiiiiiDpT3_ ; -- Begin function _ZL19k_bin_bcast_unravelIXadL_ZL6op_mulffEE6__halfffJPKfS2_S2_S2_S2_S2_S2_EEvPKT0_PKT1_PT2_15HIP_vector_typeIjLj3EESC_SC_jSC_SC_SC_SC_SC_SC_iiiiiiiiiiiDpT3_
	.p2align	8
	.type	_ZL19k_bin_bcast_unravelIXadL_ZL6op_mulffEE6__halfffJPKfS2_S2_S2_S2_S2_S2_EEvPKT0_PKT1_PT2_15HIP_vector_typeIjLj3EESC_SC_jSC_SC_SC_SC_SC_SC_iiiiiiiiiiiDpT3_,@function
_ZL19k_bin_bcast_unravelIXadL_ZL6op_mulffEE6__halfffJPKfS2_S2_S2_S2_S2_S2_EEvPKT0_PKT1_PT2_15HIP_vector_typeIjLj3EESC_SC_jSC_SC_SC_SC_SC_SC_iiiiiiiiiiiDpT3_: ; @_ZL19k_bin_bcast_unravelIXadL_ZL6op_mulffEE6__halfffJPKfS2_S2_S2_S2_S2_S2_EEvPKT0_PKT1_PT2_15HIP_vector_typeIjLj3EESC_SC_jSC_SC_SC_SC_SC_SC_iiiiiiiiiiiDpT3_
; %bb.0:
	s_load_dword s0, s[4:5], 0xfc
	s_load_dwordx8 s[8:15], s[4:5], 0x38
	s_waitcnt lgkmcnt(0)
	s_and_b32 s0, s0, 0xffff
	s_mul_i32 s6, s6, s0
	v_add_u32_e32 v0, s6, v0
	v_mul_hi_u32 v1, v0, s10
	s_load_dwordx4 s[0:3], s[4:5], 0x18
	s_waitcnt lgkmcnt(0)
	s_load_dword s3, s[4:5], 0x2c
	v_add_u32_e32 v1, v0, v1
	v_lshrrev_b32_e32 v1, s11, v1
	v_mul_lo_u32 v2, v1, s12
	v_sub_u32_e32 v0, v0, v2
	v_mul_hi_u32 v2, v0, s13
	v_add_u32_e32 v2, v0, v2
	v_lshrrev_b32_e32 v3, s14, v2
	v_mul_lo_u32 v2, v3, s15
	v_cmp_gt_u32_e32 vcc, s8, v3
	v_sub_u32_e32 v0, v0, v2
	v_mul_hi_u32 v2, v0, s0
	v_add_u32_e32 v2, v0, v2
	v_lshrrev_b32_e32 v4, s1, v2
	v_mul_lo_u32 v2, v4, s2
	s_waitcnt lgkmcnt(0)
	v_cmp_gt_u32_e64 s[0:1], s3, v4
	v_sub_u32_e32 v0, v0, v2
	v_cmp_gt_u32_e64 s[2:3], s2, v0
	s_and_b64 s[0:1], s[2:3], s[0:1]
	s_and_b64 s[0:1], s[0:1], vcc
	v_cmp_gt_u32_e32 vcc, s9, v1
	s_and_b64 s[0:1], vcc, s[0:1]
	s_and_saveexec_b64 s[2:3], s[0:1]
	s_cbranch_execz .LBB142_4
; %bb.1:
	s_load_dwordx2 s[6:7], s[4:5], 0x0
	s_load_dwordx4 s[0:3], s[4:5], 0xa8
	s_load_dwordx8 s[8:15], s[4:5], 0x88
	s_load_dwordx4 s[24:27], s[4:5], 0x78
	s_load_dwordx8 s[16:23], s[4:5], 0x58
	v_mov_b32_e32 v2, 0
	s_waitcnt lgkmcnt(0)
	s_cmp_eq_u64 s[6:7], 0
	v_mov_b32_e32 v5, 0
	s_cbranch_scc1 .LBB142_3
; %bb.2:
	v_mul_lo_u32 v5, v1, s14
	v_mul_lo_u32 v7, v3, s13
	;; [unrolled: 1-line block ×3, first 2 shown]
	v_mov_b32_e32 v6, 0
	v_mov_b32_e32 v9, s7
	v_add3_u32 v5, v7, v5, v8
	v_lshlrev_b64 v[7:8], 1, v[5:6]
	v_mul_lo_u32 v5, v0, s11
	v_add_co_u32_e32 v7, vcc, s6, v7
	v_addc_co_u32_e32 v8, vcc, v9, v8, vcc
	v_lshlrev_b64 v[5:6], 1, v[5:6]
	v_add_co_u32_e32 v5, vcc, v7, v5
	v_addc_co_u32_e32 v6, vcc, v8, v6, vcc
	global_load_ushort v5, v[5:6], off
	s_waitcnt vmcnt(0)
	v_cvt_f32_f16_e32 v5, v5
.LBB142_3:
	v_mul_hi_u32 v6, s19, v4
	v_mul_hi_u32 v7, s22, v3
	;; [unrolled: 1-line block ×4, first 2 shown]
	v_add_u32_e32 v6, v4, v6
	v_add_u32_e32 v7, v3, v7
	;; [unrolled: 1-line block ×3, first 2 shown]
	v_lshrrev_b32_e32 v6, s20, v6
	v_lshrrev_b32_e32 v7, s23, v7
	;; [unrolled: 1-line block ×3, first 2 shown]
	v_mul_lo_u32 v6, v6, s21
	v_mul_lo_u32 v7, v7, s24
	;; [unrolled: 1-line block ×3, first 2 shown]
	v_add_u32_e32 v9, v0, v9
	v_sub_u32_e32 v6, v4, v6
	v_sub_u32_e32 v7, v3, v7
	;; [unrolled: 1-line block ×3, first 2 shown]
	v_lshrrev_b32_e32 v9, s17, v9
	v_mul_lo_u32 v8, v8, s2
	v_mul_lo_u32 v7, v7, s1
	;; [unrolled: 1-line block ×5, first 2 shown]
	v_add3_u32 v6, v7, v8, v6
	v_sub_u32_e32 v8, v0, v9
	v_mul_lo_u32 v8, v8, s15
	s_load_dwordx2 s[6:7], s[4:5], 0xe8
	s_load_dwordx4 s[0:3], s[4:5], 0xd8
	s_load_dwordx8 s[12:19], s[4:5], 0xb8
	v_ashrrev_i32_e32 v7, 31, v6
	v_ashrrev_i32_e32 v9, 31, v8
	v_add_co_u32_e32 v6, vcc, v8, v6
	v_addc_co_u32_e32 v7, vcc, v9, v7, vcc
	v_lshlrev_b64 v[6:7], 2, v[6:7]
	s_waitcnt lgkmcnt(0)
	v_mov_b32_e32 v9, s13
	v_add_co_u32_e32 v8, vcc, s12, v6
	v_addc_co_u32_e32 v9, vcc, v9, v7, vcc
	global_load_dword v10, v[8:9], off
	v_mov_b32_e32 v9, s15
	v_add_co_u32_e32 v8, vcc, s14, v6
	v_addc_co_u32_e32 v9, vcc, v9, v7, vcc
	global_load_dword v11, v[8:9], off
	;; [unrolled: 4-line block ×7, first 2 shown]
	v_mul_lo_u32 v7, v1, s10
	v_mul_lo_u32 v9, v3, s9
	s_load_dwordx2 s[0:1], s[4:5], 0x10
	v_mov_b32_e32 v1, v2
	v_lshlrev_b64 v[3:4], 2, v[0:1]
	v_add3_u32 v1, v9, v7, v15
	v_lshlrev_b64 v[0:1], 2, v[1:2]
	s_waitcnt lgkmcnt(0)
	v_mov_b32_e32 v2, s1
	v_add_co_u32_e32 v0, vcc, s0, v0
	v_addc_co_u32_e32 v1, vcc, v2, v1, vcc
	v_add_co_u32_e32 v0, vcc, v0, v3
	v_addc_co_u32_e32 v1, vcc, v1, v4, vcc
	s_waitcnt vmcnt(6)
	v_mul_f32_e32 v2, v5, v10
	s_waitcnt vmcnt(5)
	v_mul_f32_e32 v2, v2, v11
	;; [unrolled: 2-line block ×7, first 2 shown]
	global_store_dword v[0:1], v2, off
.LBB142_4:
	s_endpgm
	.section	.rodata,"a",@progbits
	.p2align	6, 0x0
	.amdhsa_kernel _ZL19k_bin_bcast_unravelIXadL_ZL6op_mulffEE6__halfffJPKfS2_S2_S2_S2_S2_S2_EEvPKT0_PKT1_PT2_15HIP_vector_typeIjLj3EESC_SC_jSC_SC_SC_SC_SC_SC_iiiiiiiiiiiDpT3_
		.amdhsa_group_segment_fixed_size 0
		.amdhsa_private_segment_fixed_size 0
		.amdhsa_kernarg_size 496
		.amdhsa_user_sgpr_count 6
		.amdhsa_user_sgpr_private_segment_buffer 1
		.amdhsa_user_sgpr_dispatch_ptr 0
		.amdhsa_user_sgpr_queue_ptr 0
		.amdhsa_user_sgpr_kernarg_segment_ptr 1
		.amdhsa_user_sgpr_dispatch_id 0
		.amdhsa_user_sgpr_flat_scratch_init 0
		.amdhsa_user_sgpr_private_segment_size 0
		.amdhsa_uses_dynamic_stack 0
		.amdhsa_system_sgpr_private_segment_wavefront_offset 0
		.amdhsa_system_sgpr_workgroup_id_x 1
		.amdhsa_system_sgpr_workgroup_id_y 0
		.amdhsa_system_sgpr_workgroup_id_z 0
		.amdhsa_system_sgpr_workgroup_info 0
		.amdhsa_system_vgpr_workitem_id 0
		.amdhsa_next_free_vgpr 16
		.amdhsa_next_free_sgpr 28
		.amdhsa_reserve_vcc 1
		.amdhsa_reserve_flat_scratch 0
		.amdhsa_float_round_mode_32 0
		.amdhsa_float_round_mode_16_64 0
		.amdhsa_float_denorm_mode_32 3
		.amdhsa_float_denorm_mode_16_64 3
		.amdhsa_dx10_clamp 1
		.amdhsa_ieee_mode 1
		.amdhsa_fp16_overflow 0
		.amdhsa_exception_fp_ieee_invalid_op 0
		.amdhsa_exception_fp_denorm_src 0
		.amdhsa_exception_fp_ieee_div_zero 0
		.amdhsa_exception_fp_ieee_overflow 0
		.amdhsa_exception_fp_ieee_underflow 0
		.amdhsa_exception_fp_ieee_inexact 0
		.amdhsa_exception_int_div_zero 0
	.end_amdhsa_kernel
	.section	.text._ZL19k_bin_bcast_unravelIXadL_ZL6op_mulffEE6__halfffJPKfS2_S2_S2_S2_S2_S2_EEvPKT0_PKT1_PT2_15HIP_vector_typeIjLj3EESC_SC_jSC_SC_SC_SC_SC_SC_iiiiiiiiiiiDpT3_,"axG",@progbits,_ZL19k_bin_bcast_unravelIXadL_ZL6op_mulffEE6__halfffJPKfS2_S2_S2_S2_S2_S2_EEvPKT0_PKT1_PT2_15HIP_vector_typeIjLj3EESC_SC_jSC_SC_SC_SC_SC_SC_iiiiiiiiiiiDpT3_,comdat
.Lfunc_end142:
	.size	_ZL19k_bin_bcast_unravelIXadL_ZL6op_mulffEE6__halfffJPKfS2_S2_S2_S2_S2_S2_EEvPKT0_PKT1_PT2_15HIP_vector_typeIjLj3EESC_SC_jSC_SC_SC_SC_SC_SC_iiiiiiiiiiiDpT3_, .Lfunc_end142-_ZL19k_bin_bcast_unravelIXadL_ZL6op_mulffEE6__halfffJPKfS2_S2_S2_S2_S2_S2_EEvPKT0_PKT1_PT2_15HIP_vector_typeIjLj3EESC_SC_jSC_SC_SC_SC_SC_SC_iiiiiiiiiiiDpT3_
                                        ; -- End function
	.set _ZL19k_bin_bcast_unravelIXadL_ZL6op_mulffEE6__halfffJPKfS2_S2_S2_S2_S2_S2_EEvPKT0_PKT1_PT2_15HIP_vector_typeIjLj3EESC_SC_jSC_SC_SC_SC_SC_SC_iiiiiiiiiiiDpT3_.num_vgpr, 16
	.set _ZL19k_bin_bcast_unravelIXadL_ZL6op_mulffEE6__halfffJPKfS2_S2_S2_S2_S2_S2_EEvPKT0_PKT1_PT2_15HIP_vector_typeIjLj3EESC_SC_jSC_SC_SC_SC_SC_SC_iiiiiiiiiiiDpT3_.num_agpr, 0
	.set _ZL19k_bin_bcast_unravelIXadL_ZL6op_mulffEE6__halfffJPKfS2_S2_S2_S2_S2_S2_EEvPKT0_PKT1_PT2_15HIP_vector_typeIjLj3EESC_SC_jSC_SC_SC_SC_SC_SC_iiiiiiiiiiiDpT3_.numbered_sgpr, 28
	.set _ZL19k_bin_bcast_unravelIXadL_ZL6op_mulffEE6__halfffJPKfS2_S2_S2_S2_S2_S2_EEvPKT0_PKT1_PT2_15HIP_vector_typeIjLj3EESC_SC_jSC_SC_SC_SC_SC_SC_iiiiiiiiiiiDpT3_.num_named_barrier, 0
	.set _ZL19k_bin_bcast_unravelIXadL_ZL6op_mulffEE6__halfffJPKfS2_S2_S2_S2_S2_S2_EEvPKT0_PKT1_PT2_15HIP_vector_typeIjLj3EESC_SC_jSC_SC_SC_SC_SC_SC_iiiiiiiiiiiDpT3_.private_seg_size, 0
	.set _ZL19k_bin_bcast_unravelIXadL_ZL6op_mulffEE6__halfffJPKfS2_S2_S2_S2_S2_S2_EEvPKT0_PKT1_PT2_15HIP_vector_typeIjLj3EESC_SC_jSC_SC_SC_SC_SC_SC_iiiiiiiiiiiDpT3_.uses_vcc, 1
	.set _ZL19k_bin_bcast_unravelIXadL_ZL6op_mulffEE6__halfffJPKfS2_S2_S2_S2_S2_S2_EEvPKT0_PKT1_PT2_15HIP_vector_typeIjLj3EESC_SC_jSC_SC_SC_SC_SC_SC_iiiiiiiiiiiDpT3_.uses_flat_scratch, 0
	.set _ZL19k_bin_bcast_unravelIXadL_ZL6op_mulffEE6__halfffJPKfS2_S2_S2_S2_S2_S2_EEvPKT0_PKT1_PT2_15HIP_vector_typeIjLj3EESC_SC_jSC_SC_SC_SC_SC_SC_iiiiiiiiiiiDpT3_.has_dyn_sized_stack, 0
	.set _ZL19k_bin_bcast_unravelIXadL_ZL6op_mulffEE6__halfffJPKfS2_S2_S2_S2_S2_S2_EEvPKT0_PKT1_PT2_15HIP_vector_typeIjLj3EESC_SC_jSC_SC_SC_SC_SC_SC_iiiiiiiiiiiDpT3_.has_recursion, 0
	.set _ZL19k_bin_bcast_unravelIXadL_ZL6op_mulffEE6__halfffJPKfS2_S2_S2_S2_S2_S2_EEvPKT0_PKT1_PT2_15HIP_vector_typeIjLj3EESC_SC_jSC_SC_SC_SC_SC_SC_iiiiiiiiiiiDpT3_.has_indirect_call, 0
	.section	.AMDGPU.csdata,"",@progbits
; Kernel info:
; codeLenInByte = 840
; TotalNumSgprs: 32
; NumVgprs: 16
; ScratchSize: 0
; MemoryBound: 0
; FloatMode: 240
; IeeeMode: 1
; LDSByteSize: 0 bytes/workgroup (compile time only)
; SGPRBlocks: 3
; VGPRBlocks: 3
; NumSGPRsForWavesPerEU: 32
; NumVGPRsForWavesPerEU: 16
; Occupancy: 10
; WaveLimiterHint : 1
; COMPUTE_PGM_RSRC2:SCRATCH_EN: 0
; COMPUTE_PGM_RSRC2:USER_SGPR: 6
; COMPUTE_PGM_RSRC2:TRAP_HANDLER: 0
; COMPUTE_PGM_RSRC2:TGID_X_EN: 1
; COMPUTE_PGM_RSRC2:TGID_Y_EN: 0
; COMPUTE_PGM_RSRC2:TGID_Z_EN: 0
; COMPUTE_PGM_RSRC2:TIDIG_COMP_CNT: 0
	.section	.text._ZL11k_bin_bcastIXadL_ZL6op_mulffEE6__halfffJPKfS2_S2_S2_S2_S2_S2_EEvPKT0_PKT1_PT2_iii15HIP_vector_typeIjLj3EESC_SC_SC_SC_iiiiiiiiiiiDpT3_,"axG",@progbits,_ZL11k_bin_bcastIXadL_ZL6op_mulffEE6__halfffJPKfS2_S2_S2_S2_S2_S2_EEvPKT0_PKT1_PT2_iii15HIP_vector_typeIjLj3EESC_SC_SC_SC_iiiiiiiiiiiDpT3_,comdat
	.globl	_ZL11k_bin_bcastIXadL_ZL6op_mulffEE6__halfffJPKfS2_S2_S2_S2_S2_S2_EEvPKT0_PKT1_PT2_iii15HIP_vector_typeIjLj3EESC_SC_SC_SC_iiiiiiiiiiiDpT3_ ; -- Begin function _ZL11k_bin_bcastIXadL_ZL6op_mulffEE6__halfffJPKfS2_S2_S2_S2_S2_S2_EEvPKT0_PKT1_PT2_iii15HIP_vector_typeIjLj3EESC_SC_SC_SC_iiiiiiiiiiiDpT3_
	.p2align	8
	.type	_ZL11k_bin_bcastIXadL_ZL6op_mulffEE6__halfffJPKfS2_S2_S2_S2_S2_S2_EEvPKT0_PKT1_PT2_iii15HIP_vector_typeIjLj3EESC_SC_SC_SC_iiiiiiiiiiiDpT3_,@function
_ZL11k_bin_bcastIXadL_ZL6op_mulffEE6__halfffJPKfS2_S2_S2_S2_S2_S2_EEvPKT0_PKT1_PT2_iii15HIP_vector_typeIjLj3EESC_SC_SC_SC_iiiiiiiiiiiDpT3_: ; @_ZL11k_bin_bcastIXadL_ZL6op_mulffEE6__halfffJPKfS2_S2_S2_S2_S2_S2_EEvPKT0_PKT1_PT2_iii15HIP_vector_typeIjLj3EESC_SC_SC_SC_iiiiiiiiiiiDpT3_
; %bb.0:
	s_load_dwordx2 s[0:1], s[4:5], 0xd4
	s_load_dwordx8 s[12:19], s[4:5], 0x18
	s_add_u32 s2, s4, 0xc8
	s_addc_u32 s3, s5, 0
	s_waitcnt lgkmcnt(0)
	s_and_b32 s1, s1, 0xffff
	s_mul_i32 s8, s8, s1
	v_add_u32_e32 v3, s8, v2
	v_mul_hi_u32 v2, v3, s15
	s_lshr_b32 s1, s0, 16
	s_and_b32 s8, s0, 0xffff
	s_mul_i32 s6, s6, s8
	v_add_u32_e32 v2, v3, v2
	v_lshrrev_b32_e32 v2, s16, v2
	v_mul_lo_u32 v4, v2, s17
	s_mul_i32 s7, s7, s1
	v_add_u32_e32 v0, s6, v0
	v_add_u32_e32 v1, s7, v1
	v_cmp_gt_u32_e32 vcc, s12, v0
	v_cmp_gt_u32_e64 s[0:1], s13, v1
	v_sub_u32_e32 v3, v3, v4
	s_and_b64 s[0:1], vcc, s[0:1]
	v_cmp_gt_u32_e32 vcc, s14, v2
	s_and_b64 s[0:1], s[0:1], vcc
	v_cmp_gt_u32_e32 vcc, s17, v3
	s_and_b64 s[0:1], s[0:1], vcc
	s_and_saveexec_b64 s[6:7], s[0:1]
	s_cbranch_execz .LBB143_6
; %bb.1:
	v_cmp_gt_i32_e32 vcc, s12, v0
	s_and_b64 exec, exec, vcc
	s_cbranch_execz .LBB143_6
; %bb.2:
	s_load_dwordx8 s[36:43], s[4:5], 0x3c
	s_load_dwordx8 s[20:27], s[4:5], 0x60
	s_load_dwordx4 s[28:31], s[4:5], 0x80
	s_load_dword s6, s[2:3], 0x0
	s_load_dword s0, s[4:5], 0x5c
	s_waitcnt lgkmcnt(0)
	v_mul_hi_u32 v4, s36, v1
	v_mul_hi_u32 v5, s39, v2
	;; [unrolled: 1-line block ×3, first 2 shown]
	v_mul_lo_u32 v7, v3, s26
	v_add_u32_e32 v4, v1, v4
	v_add_u32_e32 v5, v2, v5
	;; [unrolled: 1-line block ×3, first 2 shown]
	v_lshrrev_b32_e32 v4, s37, v4
	v_lshrrev_b32_e32 v5, s40, v5
	;; [unrolled: 1-line block ×3, first 2 shown]
	v_mul_lo_u32 v4, v4, s38
	v_mul_lo_u32 v5, v5, s41
	;; [unrolled: 1-line block ×5, first 2 shown]
	v_sub_u32_e32 v4, v1, v4
	v_sub_u32_e32 v5, v2, v5
	;; [unrolled: 1-line block ×3, first 2 shown]
	s_load_dword s9, s[4:5], 0x38
	s_load_dwordx2 s[0:1], s[4:5], 0x0
	s_load_dwordx2 s[2:3], s[4:5], 0x10
	v_mul_lo_u32 v6, v6, s30
	v_mul_lo_u32 v5, v5, s29
	;; [unrolled: 1-line block ×6, first 2 shown]
	v_add3_u32 v1, v8, v9, v7
	v_mov_b32_e32 v2, 0
	v_mov_b32_e32 v8, v2
	v_lshlrev_b64 v[1:2], 1, v[1:2]
	v_add3_u32 v4, v5, v6, v4
	v_add3_u32 v7, v10, v11, v3
	s_waitcnt lgkmcnt(0)
	v_mov_b32_e32 v3, s1
	v_add_co_u32_e32 v5, vcc, s0, v1
	v_addc_co_u32_e32 v6, vcc, v3, v2, vcc
	v_lshlrev_b64 v[1:2], 2, v[7:8]
	s_load_dwordx8 s[36:43], s[4:5], 0xb0
	s_load_dwordx8 s[44:51], s[4:5], 0x90
	v_mov_b32_e32 v3, s3
	v_add_co_u32_e32 v7, vcc, s2, v1
	v_addc_co_u32_e32 v8, vcc, v3, v2, vcc
	s_cmp_lg_u64 s[0:1], 0
	v_mul_lo_u32 v2, s23, v0
	s_cselect_b64 s[0:1], -1, 0
	s_mul_i32 s6, s6, s8
	v_cndmask_b32_e64 v1, 0, 1, s[0:1]
	s_mov_b64 s[4:5], 0
	s_mul_i32 s7, s6, s23
	s_sub_i32 s8, 0, s9
	v_cmp_ne_u32_e64 s[0:1], 1, v1
	s_waitcnt lgkmcnt(0)
	v_mov_b32_e32 v9, s45
	v_mov_b32_e32 v10, s47
	;; [unrolled: 1-line block ×7, first 2 shown]
	s_branch .LBB143_4
.LBB143_3:                              ;   in Loop: Header=BB143_4 Depth=1
	v_mul_hi_u32 v1, s18, v0
	v_add_u32_e32 v2, s7, v2
	v_add_u32_e32 v1, v0, v1
	v_lshrrev_b32_e32 v1, s19, v1
	v_mad_u64_u32 v[16:17], s[2:3], s8, v1, v[0:1]
	v_mul_lo_u32 v1, v16, s27
	v_add_co_u32_e32 v16, vcc, v1, v4
	v_addc_co_u32_e64 v17, s[2:3], 0, 0, vcc
	v_lshlrev_b64 v[16:17], 2, v[16:17]
	v_ashrrev_i32_e32 v1, 31, v0
	v_add_co_u32_e32 v18, vcc, s44, v16
	v_addc_co_u32_e32 v19, vcc, v9, v17, vcc
	v_add_co_u32_e32 v20, vcc, s46, v16
	v_addc_co_u32_e32 v21, vcc, v10, v17, vcc
	;; [unrolled: 2-line block ×7, first 2 shown]
	global_load_dword v30, v[18:19], off
	global_load_dword v31, v[20:21], off
	;; [unrolled: 1-line block ×3, first 2 shown]
                                        ; kill: killed $vgpr18 killed $vgpr19
                                        ; kill: killed $vgpr20 killed $vgpr21
                                        ; kill: killed $vgpr22 killed $vgpr23
	s_nop 0
	global_load_dword v18, v[24:25], off
	global_load_dword v19, v[26:27], off
	;; [unrolled: 1-line block ×4, first 2 shown]
	v_lshlrev_b64 v[16:17], 2, v[0:1]
	v_add_u32_e32 v0, s6, v0
	v_cmp_le_i32_e32 vcc, s12, v0
	v_add_co_u32_e64 v16, s[2:3], v7, v16
	v_addc_co_u32_e64 v17, s[2:3], v8, v17, s[2:3]
	s_or_b64 s[4:5], vcc, s[4:5]
	s_waitcnt vmcnt(6)
	v_mul_f32_e32 v1, v3, v30
	s_waitcnt vmcnt(5)
	v_mul_f32_e32 v1, v1, v31
	s_waitcnt vmcnt(4)
	v_mul_f32_e32 v1, v1, v32
	s_waitcnt vmcnt(3)
	v_mul_f32_e32 v1, v1, v18
	s_waitcnt vmcnt(2)
	v_mul_f32_e32 v1, v1, v19
	s_waitcnt vmcnt(1)
	v_mul_f32_e32 v1, v1, v20
	s_waitcnt vmcnt(0)
	v_mul_f32_e32 v1, v1, v21
	global_store_dword v[16:17], v1, off
	s_andn2_b64 exec, exec, s[4:5]
	s_cbranch_execz .LBB143_6
.LBB143_4:                              ; =>This Inner Loop Header: Depth=1
	s_and_b64 vcc, exec, s[0:1]
	v_mov_b32_e32 v3, 0
	s_cbranch_vccnz .LBB143_3
; %bb.5:                                ;   in Loop: Header=BB143_4 Depth=1
	v_ashrrev_i32_e32 v3, 31, v2
	v_lshlrev_b64 v[16:17], 1, v[2:3]
	v_add_co_u32_e32 v16, vcc, v5, v16
	v_addc_co_u32_e32 v17, vcc, v6, v17, vcc
	global_load_ushort v1, v[16:17], off
	s_waitcnt vmcnt(0)
	v_cvt_f32_f16_e32 v3, v1
	s_branch .LBB143_3
.LBB143_6:
	s_endpgm
	.section	.rodata,"a",@progbits
	.p2align	6, 0x0
	.amdhsa_kernel _ZL11k_bin_bcastIXadL_ZL6op_mulffEE6__halfffJPKfS2_S2_S2_S2_S2_S2_EEvPKT0_PKT1_PT2_iii15HIP_vector_typeIjLj3EESC_SC_SC_SC_iiiiiiiiiiiDpT3_
		.amdhsa_group_segment_fixed_size 0
		.amdhsa_private_segment_fixed_size 0
		.amdhsa_kernarg_size 456
		.amdhsa_user_sgpr_count 6
		.amdhsa_user_sgpr_private_segment_buffer 1
		.amdhsa_user_sgpr_dispatch_ptr 0
		.amdhsa_user_sgpr_queue_ptr 0
		.amdhsa_user_sgpr_kernarg_segment_ptr 1
		.amdhsa_user_sgpr_dispatch_id 0
		.amdhsa_user_sgpr_flat_scratch_init 0
		.amdhsa_user_sgpr_private_segment_size 0
		.amdhsa_uses_dynamic_stack 0
		.amdhsa_system_sgpr_private_segment_wavefront_offset 0
		.amdhsa_system_sgpr_workgroup_id_x 1
		.amdhsa_system_sgpr_workgroup_id_y 1
		.amdhsa_system_sgpr_workgroup_id_z 1
		.amdhsa_system_sgpr_workgroup_info 0
		.amdhsa_system_vgpr_workitem_id 2
		.amdhsa_next_free_vgpr 33
		.amdhsa_next_free_sgpr 52
		.amdhsa_reserve_vcc 1
		.amdhsa_reserve_flat_scratch 0
		.amdhsa_float_round_mode_32 0
		.amdhsa_float_round_mode_16_64 0
		.amdhsa_float_denorm_mode_32 3
		.amdhsa_float_denorm_mode_16_64 3
		.amdhsa_dx10_clamp 1
		.amdhsa_ieee_mode 1
		.amdhsa_fp16_overflow 0
		.amdhsa_exception_fp_ieee_invalid_op 0
		.amdhsa_exception_fp_denorm_src 0
		.amdhsa_exception_fp_ieee_div_zero 0
		.amdhsa_exception_fp_ieee_overflow 0
		.amdhsa_exception_fp_ieee_underflow 0
		.amdhsa_exception_fp_ieee_inexact 0
		.amdhsa_exception_int_div_zero 0
	.end_amdhsa_kernel
	.section	.text._ZL11k_bin_bcastIXadL_ZL6op_mulffEE6__halfffJPKfS2_S2_S2_S2_S2_S2_EEvPKT0_PKT1_PT2_iii15HIP_vector_typeIjLj3EESC_SC_SC_SC_iiiiiiiiiiiDpT3_,"axG",@progbits,_ZL11k_bin_bcastIXadL_ZL6op_mulffEE6__halfffJPKfS2_S2_S2_S2_S2_S2_EEvPKT0_PKT1_PT2_iii15HIP_vector_typeIjLj3EESC_SC_SC_SC_iiiiiiiiiiiDpT3_,comdat
.Lfunc_end143:
	.size	_ZL11k_bin_bcastIXadL_ZL6op_mulffEE6__halfffJPKfS2_S2_S2_S2_S2_S2_EEvPKT0_PKT1_PT2_iii15HIP_vector_typeIjLj3EESC_SC_SC_SC_iiiiiiiiiiiDpT3_, .Lfunc_end143-_ZL11k_bin_bcastIXadL_ZL6op_mulffEE6__halfffJPKfS2_S2_S2_S2_S2_S2_EEvPKT0_PKT1_PT2_iii15HIP_vector_typeIjLj3EESC_SC_SC_SC_iiiiiiiiiiiDpT3_
                                        ; -- End function
	.set _ZL11k_bin_bcastIXadL_ZL6op_mulffEE6__halfffJPKfS2_S2_S2_S2_S2_S2_EEvPKT0_PKT1_PT2_iii15HIP_vector_typeIjLj3EESC_SC_SC_SC_iiiiiiiiiiiDpT3_.num_vgpr, 33
	.set _ZL11k_bin_bcastIXadL_ZL6op_mulffEE6__halfffJPKfS2_S2_S2_S2_S2_S2_EEvPKT0_PKT1_PT2_iii15HIP_vector_typeIjLj3EESC_SC_SC_SC_iiiiiiiiiiiDpT3_.num_agpr, 0
	.set _ZL11k_bin_bcastIXadL_ZL6op_mulffEE6__halfffJPKfS2_S2_S2_S2_S2_S2_EEvPKT0_PKT1_PT2_iii15HIP_vector_typeIjLj3EESC_SC_SC_SC_iiiiiiiiiiiDpT3_.numbered_sgpr, 52
	.set _ZL11k_bin_bcastIXadL_ZL6op_mulffEE6__halfffJPKfS2_S2_S2_S2_S2_S2_EEvPKT0_PKT1_PT2_iii15HIP_vector_typeIjLj3EESC_SC_SC_SC_iiiiiiiiiiiDpT3_.num_named_barrier, 0
	.set _ZL11k_bin_bcastIXadL_ZL6op_mulffEE6__halfffJPKfS2_S2_S2_S2_S2_S2_EEvPKT0_PKT1_PT2_iii15HIP_vector_typeIjLj3EESC_SC_SC_SC_iiiiiiiiiiiDpT3_.private_seg_size, 0
	.set _ZL11k_bin_bcastIXadL_ZL6op_mulffEE6__halfffJPKfS2_S2_S2_S2_S2_S2_EEvPKT0_PKT1_PT2_iii15HIP_vector_typeIjLj3EESC_SC_SC_SC_iiiiiiiiiiiDpT3_.uses_vcc, 1
	.set _ZL11k_bin_bcastIXadL_ZL6op_mulffEE6__halfffJPKfS2_S2_S2_S2_S2_S2_EEvPKT0_PKT1_PT2_iii15HIP_vector_typeIjLj3EESC_SC_SC_SC_iiiiiiiiiiiDpT3_.uses_flat_scratch, 0
	.set _ZL11k_bin_bcastIXadL_ZL6op_mulffEE6__halfffJPKfS2_S2_S2_S2_S2_S2_EEvPKT0_PKT1_PT2_iii15HIP_vector_typeIjLj3EESC_SC_SC_SC_iiiiiiiiiiiDpT3_.has_dyn_sized_stack, 0
	.set _ZL11k_bin_bcastIXadL_ZL6op_mulffEE6__halfffJPKfS2_S2_S2_S2_S2_S2_EEvPKT0_PKT1_PT2_iii15HIP_vector_typeIjLj3EESC_SC_SC_SC_iiiiiiiiiiiDpT3_.has_recursion, 0
	.set _ZL11k_bin_bcastIXadL_ZL6op_mulffEE6__halfffJPKfS2_S2_S2_S2_S2_S2_EEvPKT0_PKT1_PT2_iii15HIP_vector_typeIjLj3EESC_SC_SC_SC_iiiiiiiiiiiDpT3_.has_indirect_call, 0
	.section	.AMDGPU.csdata,"",@progbits
; Kernel info:
; codeLenInByte = 896
; TotalNumSgprs: 56
; NumVgprs: 33
; ScratchSize: 0
; MemoryBound: 0
; FloatMode: 240
; IeeeMode: 1
; LDSByteSize: 0 bytes/workgroup (compile time only)
; SGPRBlocks: 6
; VGPRBlocks: 8
; NumSGPRsForWavesPerEU: 56
; NumVGPRsForWavesPerEU: 33
; Occupancy: 7
; WaveLimiterHint : 1
; COMPUTE_PGM_RSRC2:SCRATCH_EN: 0
; COMPUTE_PGM_RSRC2:USER_SGPR: 6
; COMPUTE_PGM_RSRC2:TRAP_HANDLER: 0
; COMPUTE_PGM_RSRC2:TGID_X_EN: 1
; COMPUTE_PGM_RSRC2:TGID_Y_EN: 1
; COMPUTE_PGM_RSRC2:TGID_Z_EN: 1
; COMPUTE_PGM_RSRC2:TIDIG_COMP_CNT: 2
	.section	.text._ZL19k_bin_bcast_unravelIXadL_ZL6op_mulffEEfffJPKfS1_S1_S1_S1_S1_S1_S1_EEvPKT0_PKT1_PT2_15HIP_vector_typeIjLj3EESB_SB_jSB_SB_SB_SB_SB_SB_iiiiiiiiiiiDpT3_,"axG",@progbits,_ZL19k_bin_bcast_unravelIXadL_ZL6op_mulffEEfffJPKfS1_S1_S1_S1_S1_S1_S1_EEvPKT0_PKT1_PT2_15HIP_vector_typeIjLj3EESB_SB_jSB_SB_SB_SB_SB_SB_iiiiiiiiiiiDpT3_,comdat
	.globl	_ZL19k_bin_bcast_unravelIXadL_ZL6op_mulffEEfffJPKfS1_S1_S1_S1_S1_S1_S1_EEvPKT0_PKT1_PT2_15HIP_vector_typeIjLj3EESB_SB_jSB_SB_SB_SB_SB_SB_iiiiiiiiiiiDpT3_ ; -- Begin function _ZL19k_bin_bcast_unravelIXadL_ZL6op_mulffEEfffJPKfS1_S1_S1_S1_S1_S1_S1_EEvPKT0_PKT1_PT2_15HIP_vector_typeIjLj3EESB_SB_jSB_SB_SB_SB_SB_SB_iiiiiiiiiiiDpT3_
	.p2align	8
	.type	_ZL19k_bin_bcast_unravelIXadL_ZL6op_mulffEEfffJPKfS1_S1_S1_S1_S1_S1_S1_EEvPKT0_PKT1_PT2_15HIP_vector_typeIjLj3EESB_SB_jSB_SB_SB_SB_SB_SB_iiiiiiiiiiiDpT3_,@function
_ZL19k_bin_bcast_unravelIXadL_ZL6op_mulffEEfffJPKfS1_S1_S1_S1_S1_S1_S1_EEvPKT0_PKT1_PT2_15HIP_vector_typeIjLj3EESB_SB_jSB_SB_SB_SB_SB_SB_iiiiiiiiiiiDpT3_: ; @_ZL19k_bin_bcast_unravelIXadL_ZL6op_mulffEEfffJPKfS1_S1_S1_S1_S1_S1_S1_EEvPKT0_PKT1_PT2_15HIP_vector_typeIjLj3EESB_SB_jSB_SB_SB_SB_SB_SB_iiiiiiiiiiiDpT3_
; %bb.0:
	s_load_dword s0, s[4:5], 0x104
	s_load_dwordx8 s[8:15], s[4:5], 0x38
	s_waitcnt lgkmcnt(0)
	s_and_b32 s0, s0, 0xffff
	s_mul_i32 s6, s6, s0
	v_add_u32_e32 v0, s6, v0
	v_mul_hi_u32 v1, v0, s10
	s_load_dwordx4 s[0:3], s[4:5], 0x18
	s_waitcnt lgkmcnt(0)
	s_load_dword s3, s[4:5], 0x2c
	v_add_u32_e32 v1, v0, v1
	v_lshrrev_b32_e32 v1, s11, v1
	v_mul_lo_u32 v2, v1, s12
	v_sub_u32_e32 v0, v0, v2
	v_mul_hi_u32 v2, v0, s13
	v_add_u32_e32 v2, v0, v2
	v_lshrrev_b32_e32 v3, s14, v2
	v_mul_lo_u32 v2, v3, s15
	v_cmp_gt_u32_e32 vcc, s8, v3
	v_sub_u32_e32 v0, v0, v2
	v_mul_hi_u32 v2, v0, s0
	v_add_u32_e32 v2, v0, v2
	v_lshrrev_b32_e32 v4, s1, v2
	v_mul_lo_u32 v2, v4, s2
	s_waitcnt lgkmcnt(0)
	v_cmp_gt_u32_e64 s[0:1], s3, v4
	v_sub_u32_e32 v0, v0, v2
	v_cmp_gt_u32_e64 s[2:3], s2, v0
	s_and_b64 s[0:1], s[2:3], s[0:1]
	s_and_b64 s[0:1], s[0:1], vcc
	v_cmp_gt_u32_e32 vcc, s9, v1
	s_and_b64 s[0:1], vcc, s[0:1]
	s_and_saveexec_b64 s[2:3], s[0:1]
	s_cbranch_execz .LBB144_4
; %bb.1:
	s_load_dwordx2 s[6:7], s[4:5], 0x0
	s_load_dwordx4 s[0:3], s[4:5], 0xa8
	s_load_dwordx8 s[24:31], s[4:5], 0x88
	s_load_dwordx4 s[16:19], s[4:5], 0x78
	s_load_dwordx8 s[8:15], s[4:5], 0x58
	v_mov_b32_e32 v2, 0
	s_waitcnt lgkmcnt(0)
	s_cmp_eq_u64 s[6:7], 0
	v_mov_b32_e32 v5, 0
	s_cbranch_scc1 .LBB144_3
; %bb.2:
	v_mul_lo_u32 v5, v1, s30
	v_mul_lo_u32 v7, v3, s29
	;; [unrolled: 1-line block ×3, first 2 shown]
	v_mov_b32_e32 v6, 0
	v_mov_b32_e32 v9, s7
	v_add3_u32 v5, v7, v5, v8
	v_lshlrev_b64 v[7:8], 2, v[5:6]
	v_mul_lo_u32 v5, v0, s27
	v_add_co_u32_e32 v7, vcc, s6, v7
	v_addc_co_u32_e32 v8, vcc, v9, v8, vcc
	v_lshlrev_b64 v[5:6], 2, v[5:6]
	v_add_co_u32_e32 v5, vcc, v7, v5
	v_addc_co_u32_e32 v6, vcc, v8, v6, vcc
	global_load_dword v5, v[5:6], off
.LBB144_3:
	v_mul_hi_u32 v6, s11, v4
	v_mul_hi_u32 v7, s14, v3
	v_mul_hi_u32 v8, s17, v1
	v_mul_hi_u32 v9, s8, v0
	v_add_u32_e32 v6, v4, v6
	v_add_u32_e32 v7, v3, v7
	;; [unrolled: 1-line block ×3, first 2 shown]
	v_lshrrev_b32_e32 v6, s12, v6
	v_lshrrev_b32_e32 v7, s15, v7
	;; [unrolled: 1-line block ×3, first 2 shown]
	v_add_u32_e32 v9, v0, v9
	v_mul_lo_u32 v6, v6, s13
	v_mul_lo_u32 v7, v7, s16
	;; [unrolled: 1-line block ×3, first 2 shown]
	v_lshrrev_b32_e32 v9, s9, v9
	v_mul_lo_u32 v9, v9, s10
	v_sub_u32_e32 v6, v4, v6
	v_sub_u32_e32 v7, v3, v7
	;; [unrolled: 1-line block ×3, first 2 shown]
	v_mul_lo_u32 v8, v8, s2
	v_mul_lo_u32 v7, v7, s1
	;; [unrolled: 1-line block ×3, first 2 shown]
	v_sub_u32_e32 v9, v0, v9
	v_mul_lo_u32 v9, v9, s31
	s_load_dwordx16 s[8:23], s[4:5], 0xb8
	v_add3_u32 v6, v7, v8, v6
	v_ashrrev_i32_e32 v7, 31, v6
	v_ashrrev_i32_e32 v8, 31, v9
	v_add_co_u32_e32 v6, vcc, v9, v6
	v_addc_co_u32_e32 v7, vcc, v8, v7, vcc
	v_lshlrev_b64 v[6:7], 2, v[6:7]
	s_waitcnt lgkmcnt(0)
	v_mov_b32_e32 v9, s9
	v_add_co_u32_e32 v8, vcc, s8, v6
	v_addc_co_u32_e32 v9, vcc, v9, v7, vcc
	global_load_dword v10, v[8:9], off
	v_mov_b32_e32 v9, s11
	v_add_co_u32_e32 v8, vcc, s10, v6
	v_addc_co_u32_e32 v9, vcc, v9, v7, vcc
	global_load_dword v11, v[8:9], off
	;; [unrolled: 4-line block ×8, first 2 shown]
	v_mul_lo_u32 v7, v1, s26
	v_mul_lo_u32 v9, v3, s25
	;; [unrolled: 1-line block ×3, first 2 shown]
	s_load_dwordx2 s[0:1], s[4:5], 0x10
	v_mov_b32_e32 v1, v2
	v_lshlrev_b64 v[3:4], 2, v[0:1]
	v_add3_u32 v1, v9, v7, v16
	v_lshlrev_b64 v[0:1], 2, v[1:2]
	s_waitcnt lgkmcnt(0)
	v_mov_b32_e32 v2, s1
	v_add_co_u32_e32 v0, vcc, s0, v0
	v_addc_co_u32_e32 v1, vcc, v2, v1, vcc
	v_add_co_u32_e32 v0, vcc, v0, v3
	v_addc_co_u32_e32 v1, vcc, v1, v4, vcc
	s_waitcnt vmcnt(7)
	v_mul_f32_e32 v2, v5, v10
	s_waitcnt vmcnt(6)
	v_mul_f32_e32 v2, v2, v11
	;; [unrolled: 2-line block ×8, first 2 shown]
	global_store_dword v[0:1], v2, off
.LBB144_4:
	s_endpgm
	.section	.rodata,"a",@progbits
	.p2align	6, 0x0
	.amdhsa_kernel _ZL19k_bin_bcast_unravelIXadL_ZL6op_mulffEEfffJPKfS1_S1_S1_S1_S1_S1_S1_EEvPKT0_PKT1_PT2_15HIP_vector_typeIjLj3EESB_SB_jSB_SB_SB_SB_SB_SB_iiiiiiiiiiiDpT3_
		.amdhsa_group_segment_fixed_size 0
		.amdhsa_private_segment_fixed_size 0
		.amdhsa_kernarg_size 504
		.amdhsa_user_sgpr_count 6
		.amdhsa_user_sgpr_private_segment_buffer 1
		.amdhsa_user_sgpr_dispatch_ptr 0
		.amdhsa_user_sgpr_queue_ptr 0
		.amdhsa_user_sgpr_kernarg_segment_ptr 1
		.amdhsa_user_sgpr_dispatch_id 0
		.amdhsa_user_sgpr_flat_scratch_init 0
		.amdhsa_user_sgpr_private_segment_size 0
		.amdhsa_uses_dynamic_stack 0
		.amdhsa_system_sgpr_private_segment_wavefront_offset 0
		.amdhsa_system_sgpr_workgroup_id_x 1
		.amdhsa_system_sgpr_workgroup_id_y 0
		.amdhsa_system_sgpr_workgroup_id_z 0
		.amdhsa_system_sgpr_workgroup_info 0
		.amdhsa_system_vgpr_workitem_id 0
		.amdhsa_next_free_vgpr 17
		.amdhsa_next_free_sgpr 32
		.amdhsa_reserve_vcc 1
		.amdhsa_reserve_flat_scratch 0
		.amdhsa_float_round_mode_32 0
		.amdhsa_float_round_mode_16_64 0
		.amdhsa_float_denorm_mode_32 3
		.amdhsa_float_denorm_mode_16_64 3
		.amdhsa_dx10_clamp 1
		.amdhsa_ieee_mode 1
		.amdhsa_fp16_overflow 0
		.amdhsa_exception_fp_ieee_invalid_op 0
		.amdhsa_exception_fp_denorm_src 0
		.amdhsa_exception_fp_ieee_div_zero 0
		.amdhsa_exception_fp_ieee_overflow 0
		.amdhsa_exception_fp_ieee_underflow 0
		.amdhsa_exception_fp_ieee_inexact 0
		.amdhsa_exception_int_div_zero 0
	.end_amdhsa_kernel
	.section	.text._ZL19k_bin_bcast_unravelIXadL_ZL6op_mulffEEfffJPKfS1_S1_S1_S1_S1_S1_S1_EEvPKT0_PKT1_PT2_15HIP_vector_typeIjLj3EESB_SB_jSB_SB_SB_SB_SB_SB_iiiiiiiiiiiDpT3_,"axG",@progbits,_ZL19k_bin_bcast_unravelIXadL_ZL6op_mulffEEfffJPKfS1_S1_S1_S1_S1_S1_S1_EEvPKT0_PKT1_PT2_15HIP_vector_typeIjLj3EESB_SB_jSB_SB_SB_SB_SB_SB_iiiiiiiiiiiDpT3_,comdat
.Lfunc_end144:
	.size	_ZL19k_bin_bcast_unravelIXadL_ZL6op_mulffEEfffJPKfS1_S1_S1_S1_S1_S1_S1_EEvPKT0_PKT1_PT2_15HIP_vector_typeIjLj3EESB_SB_jSB_SB_SB_SB_SB_SB_iiiiiiiiiiiDpT3_, .Lfunc_end144-_ZL19k_bin_bcast_unravelIXadL_ZL6op_mulffEEfffJPKfS1_S1_S1_S1_S1_S1_S1_EEvPKT0_PKT1_PT2_15HIP_vector_typeIjLj3EESB_SB_jSB_SB_SB_SB_SB_SB_iiiiiiiiiiiDpT3_
                                        ; -- End function
	.set _ZL19k_bin_bcast_unravelIXadL_ZL6op_mulffEEfffJPKfS1_S1_S1_S1_S1_S1_S1_EEvPKT0_PKT1_PT2_15HIP_vector_typeIjLj3EESB_SB_jSB_SB_SB_SB_SB_SB_iiiiiiiiiiiDpT3_.num_vgpr, 17
	.set _ZL19k_bin_bcast_unravelIXadL_ZL6op_mulffEEfffJPKfS1_S1_S1_S1_S1_S1_S1_EEvPKT0_PKT1_PT2_15HIP_vector_typeIjLj3EESB_SB_jSB_SB_SB_SB_SB_SB_iiiiiiiiiiiDpT3_.num_agpr, 0
	.set _ZL19k_bin_bcast_unravelIXadL_ZL6op_mulffEEfffJPKfS1_S1_S1_S1_S1_S1_S1_EEvPKT0_PKT1_PT2_15HIP_vector_typeIjLj3EESB_SB_jSB_SB_SB_SB_SB_SB_iiiiiiiiiiiDpT3_.numbered_sgpr, 32
	.set _ZL19k_bin_bcast_unravelIXadL_ZL6op_mulffEEfffJPKfS1_S1_S1_S1_S1_S1_S1_EEvPKT0_PKT1_PT2_15HIP_vector_typeIjLj3EESB_SB_jSB_SB_SB_SB_SB_SB_iiiiiiiiiiiDpT3_.num_named_barrier, 0
	.set _ZL19k_bin_bcast_unravelIXadL_ZL6op_mulffEEfffJPKfS1_S1_S1_S1_S1_S1_S1_EEvPKT0_PKT1_PT2_15HIP_vector_typeIjLj3EESB_SB_jSB_SB_SB_SB_SB_SB_iiiiiiiiiiiDpT3_.private_seg_size, 0
	.set _ZL19k_bin_bcast_unravelIXadL_ZL6op_mulffEEfffJPKfS1_S1_S1_S1_S1_S1_S1_EEvPKT0_PKT1_PT2_15HIP_vector_typeIjLj3EESB_SB_jSB_SB_SB_SB_SB_SB_iiiiiiiiiiiDpT3_.uses_vcc, 1
	.set _ZL19k_bin_bcast_unravelIXadL_ZL6op_mulffEEfffJPKfS1_S1_S1_S1_S1_S1_S1_EEvPKT0_PKT1_PT2_15HIP_vector_typeIjLj3EESB_SB_jSB_SB_SB_SB_SB_SB_iiiiiiiiiiiDpT3_.uses_flat_scratch, 0
	.set _ZL19k_bin_bcast_unravelIXadL_ZL6op_mulffEEfffJPKfS1_S1_S1_S1_S1_S1_S1_EEvPKT0_PKT1_PT2_15HIP_vector_typeIjLj3EESB_SB_jSB_SB_SB_SB_SB_SB_iiiiiiiiiiiDpT3_.has_dyn_sized_stack, 0
	.set _ZL19k_bin_bcast_unravelIXadL_ZL6op_mulffEEfffJPKfS1_S1_S1_S1_S1_S1_S1_EEvPKT0_PKT1_PT2_15HIP_vector_typeIjLj3EESB_SB_jSB_SB_SB_SB_SB_SB_iiiiiiiiiiiDpT3_.has_recursion, 0
	.set _ZL19k_bin_bcast_unravelIXadL_ZL6op_mulffEEfffJPKfS1_S1_S1_S1_S1_S1_S1_EEvPKT0_PKT1_PT2_15HIP_vector_typeIjLj3EESB_SB_jSB_SB_SB_SB_SB_SB_iiiiiiiiiiiDpT3_.has_indirect_call, 0
	.section	.AMDGPU.csdata,"",@progbits
; Kernel info:
; codeLenInByte = 844
; TotalNumSgprs: 36
; NumVgprs: 17
; ScratchSize: 0
; MemoryBound: 0
; FloatMode: 240
; IeeeMode: 1
; LDSByteSize: 0 bytes/workgroup (compile time only)
; SGPRBlocks: 4
; VGPRBlocks: 4
; NumSGPRsForWavesPerEU: 36
; NumVGPRsForWavesPerEU: 17
; Occupancy: 10
; WaveLimiterHint : 1
; COMPUTE_PGM_RSRC2:SCRATCH_EN: 0
; COMPUTE_PGM_RSRC2:USER_SGPR: 6
; COMPUTE_PGM_RSRC2:TRAP_HANDLER: 0
; COMPUTE_PGM_RSRC2:TGID_X_EN: 1
; COMPUTE_PGM_RSRC2:TGID_Y_EN: 0
; COMPUTE_PGM_RSRC2:TGID_Z_EN: 0
; COMPUTE_PGM_RSRC2:TIDIG_COMP_CNT: 0
	.section	.text._ZL11k_bin_bcastIXadL_ZL6op_mulffEEfffJPKfS1_S1_S1_S1_S1_S1_S1_EEvPKT0_PKT1_PT2_iii15HIP_vector_typeIjLj3EESB_SB_SB_SB_iiiiiiiiiiiDpT3_,"axG",@progbits,_ZL11k_bin_bcastIXadL_ZL6op_mulffEEfffJPKfS1_S1_S1_S1_S1_S1_S1_EEvPKT0_PKT1_PT2_iii15HIP_vector_typeIjLj3EESB_SB_SB_SB_iiiiiiiiiiiDpT3_,comdat
	.globl	_ZL11k_bin_bcastIXadL_ZL6op_mulffEEfffJPKfS1_S1_S1_S1_S1_S1_S1_EEvPKT0_PKT1_PT2_iii15HIP_vector_typeIjLj3EESB_SB_SB_SB_iiiiiiiiiiiDpT3_ ; -- Begin function _ZL11k_bin_bcastIXadL_ZL6op_mulffEEfffJPKfS1_S1_S1_S1_S1_S1_S1_EEvPKT0_PKT1_PT2_iii15HIP_vector_typeIjLj3EESB_SB_SB_SB_iiiiiiiiiiiDpT3_
	.p2align	8
	.type	_ZL11k_bin_bcastIXadL_ZL6op_mulffEEfffJPKfS1_S1_S1_S1_S1_S1_S1_EEvPKT0_PKT1_PT2_iii15HIP_vector_typeIjLj3EESB_SB_SB_SB_iiiiiiiiiiiDpT3_,@function
_ZL11k_bin_bcastIXadL_ZL6op_mulffEEfffJPKfS1_S1_S1_S1_S1_S1_S1_EEvPKT0_PKT1_PT2_iii15HIP_vector_typeIjLj3EESB_SB_SB_SB_iiiiiiiiiiiDpT3_: ; @_ZL11k_bin_bcastIXadL_ZL6op_mulffEEfffJPKfS1_S1_S1_S1_S1_S1_S1_EEvPKT0_PKT1_PT2_iii15HIP_vector_typeIjLj3EESB_SB_SB_SB_iiiiiiiiiiiDpT3_
; %bb.0:
	s_load_dwordx2 s[0:1], s[4:5], 0xdc
	s_load_dwordx8 s[24:31], s[4:5], 0x18
	s_add_u32 s2, s4, 0xd0
	s_addc_u32 s3, s5, 0
	s_waitcnt lgkmcnt(0)
	s_and_b32 s1, s1, 0xffff
	s_mul_i32 s8, s8, s1
	v_add_u32_e32 v3, s8, v2
	v_mul_hi_u32 v2, v3, s27
	s_lshr_b32 s1, s0, 16
	s_and_b32 s27, s0, 0xffff
	s_mul_i32 s6, s6, s27
	v_add_u32_e32 v2, v3, v2
	v_lshrrev_b32_e32 v2, s28, v2
	v_mul_lo_u32 v4, v2, s29
	s_mul_i32 s7, s7, s1
	v_add_u32_e32 v0, s6, v0
	v_add_u32_e32 v1, s7, v1
	v_cmp_gt_u32_e32 vcc, s24, v0
	v_cmp_gt_u32_e64 s[0:1], s25, v1
	v_sub_u32_e32 v3, v3, v4
	s_and_b64 s[0:1], vcc, s[0:1]
	v_cmp_gt_u32_e32 vcc, s26, v2
	s_and_b64 s[0:1], s[0:1], vcc
	v_cmp_gt_u32_e32 vcc, s29, v3
	s_and_b64 s[0:1], s[0:1], vcc
	s_and_saveexec_b64 s[6:7], s[0:1]
	s_cbranch_execz .LBB145_6
; %bb.1:
	v_cmp_gt_i32_e32 vcc, s24, v0
	s_and_b64 exec, exec, vcc
	s_cbranch_execz .LBB145_6
; %bb.2:
	s_load_dwordx8 s[8:15], s[4:5], 0x3c
	s_load_dwordx8 s[36:43], s[4:5], 0x60
	s_load_dwordx4 s[16:19], s[4:5], 0x80
	s_load_dword s6, s[2:3], 0x0
	s_load_dword s0, s[4:5], 0x5c
	s_waitcnt lgkmcnt(0)
	v_mul_hi_u32 v4, s8, v1
	v_mul_hi_u32 v5, s11, v2
	;; [unrolled: 1-line block ×3, first 2 shown]
	v_mul_lo_u32 v7, v3, s42
	v_add_u32_e32 v4, v1, v4
	v_add_u32_e32 v5, v2, v5
	;; [unrolled: 1-line block ×3, first 2 shown]
	v_lshrrev_b32_e32 v4, s9, v4
	v_lshrrev_b32_e32 v5, s12, v5
	;; [unrolled: 1-line block ×3, first 2 shown]
	v_mul_lo_u32 v4, v4, s10
	v_mul_lo_u32 v5, v5, s13
	;; [unrolled: 1-line block ×5, first 2 shown]
	v_sub_u32_e32 v4, v1, v4
	v_sub_u32_e32 v5, v2, v5
	;; [unrolled: 1-line block ×3, first 2 shown]
	s_load_dword s25, s[4:5], 0x38
	s_load_dwordx2 s[0:1], s[4:5], 0x0
	s_load_dwordx2 s[2:3], s[4:5], 0x10
	v_mul_lo_u32 v6, v6, s18
	v_mul_lo_u32 v5, v5, s17
	;; [unrolled: 1-line block ×6, first 2 shown]
	v_add3_u32 v1, v8, v9, v7
	v_mov_b32_e32 v2, 0
	v_mov_b32_e32 v8, v2
	v_lshlrev_b64 v[1:2], 2, v[1:2]
	v_add3_u32 v4, v5, v6, v4
	v_add3_u32 v7, v10, v11, v3
	s_waitcnt lgkmcnt(0)
	v_mov_b32_e32 v3, s1
	v_add_co_u32_e32 v5, vcc, s0, v1
	v_addc_co_u32_e32 v6, vcc, v3, v2, vcc
	v_lshlrev_b64 v[1:2], 2, v[7:8]
	s_load_dwordx16 s[8:23], s[4:5], 0x90
	v_mov_b32_e32 v3, s3
	v_add_co_u32_e32 v7, vcc, s2, v1
	v_addc_co_u32_e32 v8, vcc, v3, v2, vcc
	s_cmp_lg_u64 s[0:1], 0
	v_mul_lo_u32 v2, s39, v0
	s_cselect_b64 s[0:1], -1, 0
	s_mul_i32 s6, s6, s27
	v_cndmask_b32_e64 v1, 0, 1, s[0:1]
	s_mov_b64 s[4:5], 0
	s_mul_i32 s7, s6, s39
	s_sub_i32 s25, 0, s25
	s_waitcnt lgkmcnt(0)
	v_mov_b32_e32 v9, s9
	v_mov_b32_e32 v10, s11
	;; [unrolled: 1-line block ×4, first 2 shown]
	v_cmp_ne_u32_e64 s[0:1], 1, v1
	v_mov_b32_e32 v13, s17
	v_mov_b32_e32 v14, s19
	;; [unrolled: 1-line block ×4, first 2 shown]
	s_branch .LBB145_4
.LBB145_3:                              ;   in Loop: Header=BB145_4 Depth=1
	v_mul_hi_u32 v1, s30, v0
	v_add_u32_e32 v2, s7, v2
	v_add_u32_e32 v1, v0, v1
	v_lshrrev_b32_e32 v1, s31, v1
	v_mad_u64_u32 v[17:18], s[2:3], s25, v1, v[0:1]
	v_mul_lo_u32 v1, v17, s43
	v_add_co_u32_e32 v17, vcc, v1, v4
	v_addc_co_u32_e64 v18, s[2:3], 0, 0, vcc
	v_lshlrev_b64 v[17:18], 2, v[17:18]
	v_ashrrev_i32_e32 v1, 31, v0
	v_add_co_u32_e32 v19, vcc, s8, v17
	v_addc_co_u32_e32 v20, vcc, v9, v18, vcc
	v_add_co_u32_e32 v21, vcc, s10, v17
	v_addc_co_u32_e32 v22, vcc, v10, v18, vcc
	;; [unrolled: 2-line block ×8, first 2 shown]
	global_load_dword v19, v[19:20], off
	s_nop 0
	global_load_dword v20, v[21:22], off
	s_nop 0
	global_load_dword v21, v[23:24], off
	global_load_dword v22, v[25:26], off
                                        ; kill: killed $vgpr25 killed $vgpr26
                                        ; kill: killed $vgpr23 killed $vgpr24
	s_nop 0
	global_load_dword v23, v[27:28], off
	global_load_dword v24, v[29:30], off
	;; [unrolled: 1-line block ×4, first 2 shown]
	v_lshlrev_b64 v[17:18], 2, v[0:1]
	v_add_u32_e32 v0, s6, v0
	v_cmp_le_i32_e32 vcc, s24, v0
	v_add_co_u32_e64 v17, s[2:3], v7, v17
	v_addc_co_u32_e64 v18, s[2:3], v8, v18, s[2:3]
	s_or_b64 s[4:5], vcc, s[4:5]
	s_waitcnt vmcnt(7)
	v_mul_f32_e32 v1, v3, v19
	s_waitcnt vmcnt(6)
	v_mul_f32_e32 v1, v1, v20
	;; [unrolled: 2-line block ×8, first 2 shown]
	global_store_dword v[17:18], v1, off
	s_andn2_b64 exec, exec, s[4:5]
	s_cbranch_execz .LBB145_6
.LBB145_4:                              ; =>This Inner Loop Header: Depth=1
	s_and_b64 vcc, exec, s[0:1]
	v_mov_b32_e32 v3, 0
	s_cbranch_vccnz .LBB145_3
; %bb.5:                                ;   in Loop: Header=BB145_4 Depth=1
	v_ashrrev_i32_e32 v3, 31, v2
	v_lshlrev_b64 v[17:18], 2, v[2:3]
	v_add_co_u32_e32 v17, vcc, v5, v17
	v_addc_co_u32_e32 v18, vcc, v6, v18, vcc
	global_load_dword v3, v[17:18], off
	s_branch .LBB145_3
.LBB145_6:
	s_endpgm
	.section	.rodata,"a",@progbits
	.p2align	6, 0x0
	.amdhsa_kernel _ZL11k_bin_bcastIXadL_ZL6op_mulffEEfffJPKfS1_S1_S1_S1_S1_S1_S1_EEvPKT0_PKT1_PT2_iii15HIP_vector_typeIjLj3EESB_SB_SB_SB_iiiiiiiiiiiDpT3_
		.amdhsa_group_segment_fixed_size 0
		.amdhsa_private_segment_fixed_size 0
		.amdhsa_kernarg_size 464
		.amdhsa_user_sgpr_count 6
		.amdhsa_user_sgpr_private_segment_buffer 1
		.amdhsa_user_sgpr_dispatch_ptr 0
		.amdhsa_user_sgpr_queue_ptr 0
		.amdhsa_user_sgpr_kernarg_segment_ptr 1
		.amdhsa_user_sgpr_dispatch_id 0
		.amdhsa_user_sgpr_flat_scratch_init 0
		.amdhsa_user_sgpr_private_segment_size 0
		.amdhsa_uses_dynamic_stack 0
		.amdhsa_system_sgpr_private_segment_wavefront_offset 0
		.amdhsa_system_sgpr_workgroup_id_x 1
		.amdhsa_system_sgpr_workgroup_id_y 1
		.amdhsa_system_sgpr_workgroup_id_z 1
		.amdhsa_system_sgpr_workgroup_info 0
		.amdhsa_system_vgpr_workitem_id 2
		.amdhsa_next_free_vgpr 33
		.amdhsa_next_free_sgpr 44
		.amdhsa_reserve_vcc 1
		.amdhsa_reserve_flat_scratch 0
		.amdhsa_float_round_mode_32 0
		.amdhsa_float_round_mode_16_64 0
		.amdhsa_float_denorm_mode_32 3
		.amdhsa_float_denorm_mode_16_64 3
		.amdhsa_dx10_clamp 1
		.amdhsa_ieee_mode 1
		.amdhsa_fp16_overflow 0
		.amdhsa_exception_fp_ieee_invalid_op 0
		.amdhsa_exception_fp_denorm_src 0
		.amdhsa_exception_fp_ieee_div_zero 0
		.amdhsa_exception_fp_ieee_overflow 0
		.amdhsa_exception_fp_ieee_underflow 0
		.amdhsa_exception_fp_ieee_inexact 0
		.amdhsa_exception_int_div_zero 0
	.end_amdhsa_kernel
	.section	.text._ZL11k_bin_bcastIXadL_ZL6op_mulffEEfffJPKfS1_S1_S1_S1_S1_S1_S1_EEvPKT0_PKT1_PT2_iii15HIP_vector_typeIjLj3EESB_SB_SB_SB_iiiiiiiiiiiDpT3_,"axG",@progbits,_ZL11k_bin_bcastIXadL_ZL6op_mulffEEfffJPKfS1_S1_S1_S1_S1_S1_S1_EEvPKT0_PKT1_PT2_iii15HIP_vector_typeIjLj3EESB_SB_SB_SB_iiiiiiiiiiiDpT3_,comdat
.Lfunc_end145:
	.size	_ZL11k_bin_bcastIXadL_ZL6op_mulffEEfffJPKfS1_S1_S1_S1_S1_S1_S1_EEvPKT0_PKT1_PT2_iii15HIP_vector_typeIjLj3EESB_SB_SB_SB_iiiiiiiiiiiDpT3_, .Lfunc_end145-_ZL11k_bin_bcastIXadL_ZL6op_mulffEEfffJPKfS1_S1_S1_S1_S1_S1_S1_EEvPKT0_PKT1_PT2_iii15HIP_vector_typeIjLj3EESB_SB_SB_SB_iiiiiiiiiiiDpT3_
                                        ; -- End function
	.set _ZL11k_bin_bcastIXadL_ZL6op_mulffEEfffJPKfS1_S1_S1_S1_S1_S1_S1_EEvPKT0_PKT1_PT2_iii15HIP_vector_typeIjLj3EESB_SB_SB_SB_iiiiiiiiiiiDpT3_.num_vgpr, 33
	.set _ZL11k_bin_bcastIXadL_ZL6op_mulffEEfffJPKfS1_S1_S1_S1_S1_S1_S1_EEvPKT0_PKT1_PT2_iii15HIP_vector_typeIjLj3EESB_SB_SB_SB_iiiiiiiiiiiDpT3_.num_agpr, 0
	.set _ZL11k_bin_bcastIXadL_ZL6op_mulffEEfffJPKfS1_S1_S1_S1_S1_S1_S1_EEvPKT0_PKT1_PT2_iii15HIP_vector_typeIjLj3EESB_SB_SB_SB_iiiiiiiiiiiDpT3_.numbered_sgpr, 44
	.set _ZL11k_bin_bcastIXadL_ZL6op_mulffEEfffJPKfS1_S1_S1_S1_S1_S1_S1_EEvPKT0_PKT1_PT2_iii15HIP_vector_typeIjLj3EESB_SB_SB_SB_iiiiiiiiiiiDpT3_.num_named_barrier, 0
	.set _ZL11k_bin_bcastIXadL_ZL6op_mulffEEfffJPKfS1_S1_S1_S1_S1_S1_S1_EEvPKT0_PKT1_PT2_iii15HIP_vector_typeIjLj3EESB_SB_SB_SB_iiiiiiiiiiiDpT3_.private_seg_size, 0
	.set _ZL11k_bin_bcastIXadL_ZL6op_mulffEEfffJPKfS1_S1_S1_S1_S1_S1_S1_EEvPKT0_PKT1_PT2_iii15HIP_vector_typeIjLj3EESB_SB_SB_SB_iiiiiiiiiiiDpT3_.uses_vcc, 1
	.set _ZL11k_bin_bcastIXadL_ZL6op_mulffEEfffJPKfS1_S1_S1_S1_S1_S1_S1_EEvPKT0_PKT1_PT2_iii15HIP_vector_typeIjLj3EESB_SB_SB_SB_iiiiiiiiiiiDpT3_.uses_flat_scratch, 0
	.set _ZL11k_bin_bcastIXadL_ZL6op_mulffEEfffJPKfS1_S1_S1_S1_S1_S1_S1_EEvPKT0_PKT1_PT2_iii15HIP_vector_typeIjLj3EESB_SB_SB_SB_iiiiiiiiiiiDpT3_.has_dyn_sized_stack, 0
	.set _ZL11k_bin_bcastIXadL_ZL6op_mulffEEfffJPKfS1_S1_S1_S1_S1_S1_S1_EEvPKT0_PKT1_PT2_iii15HIP_vector_typeIjLj3EESB_SB_SB_SB_iiiiiiiiiiiDpT3_.has_recursion, 0
	.set _ZL11k_bin_bcastIXadL_ZL6op_mulffEEfffJPKfS1_S1_S1_S1_S1_S1_S1_EEvPKT0_PKT1_PT2_iii15HIP_vector_typeIjLj3EESB_SB_SB_SB_iiiiiiiiiiiDpT3_.has_indirect_call, 0
	.section	.AMDGPU.csdata,"",@progbits
; Kernel info:
; codeLenInByte = 916
; TotalNumSgprs: 48
; NumVgprs: 33
; ScratchSize: 0
; MemoryBound: 0
; FloatMode: 240
; IeeeMode: 1
; LDSByteSize: 0 bytes/workgroup (compile time only)
; SGPRBlocks: 5
; VGPRBlocks: 8
; NumSGPRsForWavesPerEU: 48
; NumVGPRsForWavesPerEU: 33
; Occupancy: 7
; WaveLimiterHint : 1
; COMPUTE_PGM_RSRC2:SCRATCH_EN: 0
; COMPUTE_PGM_RSRC2:USER_SGPR: 6
; COMPUTE_PGM_RSRC2:TRAP_HANDLER: 0
; COMPUTE_PGM_RSRC2:TGID_X_EN: 1
; COMPUTE_PGM_RSRC2:TGID_Y_EN: 1
; COMPUTE_PGM_RSRC2:TGID_Z_EN: 1
; COMPUTE_PGM_RSRC2:TIDIG_COMP_CNT: 2
	.section	.text._ZL19k_bin_bcast_unravelIXadL_ZL6op_mulffEE6__halfS0_S0_JPKS0_S2_S2_S2_S2_S2_S2_S2_EEvPKT0_PKT1_PT2_15HIP_vector_typeIjLj3EESC_SC_jSC_SC_SC_SC_SC_SC_iiiiiiiiiiiDpT3_,"axG",@progbits,_ZL19k_bin_bcast_unravelIXadL_ZL6op_mulffEE6__halfS0_S0_JPKS0_S2_S2_S2_S2_S2_S2_S2_EEvPKT0_PKT1_PT2_15HIP_vector_typeIjLj3EESC_SC_jSC_SC_SC_SC_SC_SC_iiiiiiiiiiiDpT3_,comdat
	.globl	_ZL19k_bin_bcast_unravelIXadL_ZL6op_mulffEE6__halfS0_S0_JPKS0_S2_S2_S2_S2_S2_S2_S2_EEvPKT0_PKT1_PT2_15HIP_vector_typeIjLj3EESC_SC_jSC_SC_SC_SC_SC_SC_iiiiiiiiiiiDpT3_ ; -- Begin function _ZL19k_bin_bcast_unravelIXadL_ZL6op_mulffEE6__halfS0_S0_JPKS0_S2_S2_S2_S2_S2_S2_S2_EEvPKT0_PKT1_PT2_15HIP_vector_typeIjLj3EESC_SC_jSC_SC_SC_SC_SC_SC_iiiiiiiiiiiDpT3_
	.p2align	8
	.type	_ZL19k_bin_bcast_unravelIXadL_ZL6op_mulffEE6__halfS0_S0_JPKS0_S2_S2_S2_S2_S2_S2_S2_EEvPKT0_PKT1_PT2_15HIP_vector_typeIjLj3EESC_SC_jSC_SC_SC_SC_SC_SC_iiiiiiiiiiiDpT3_,@function
_ZL19k_bin_bcast_unravelIXadL_ZL6op_mulffEE6__halfS0_S0_JPKS0_S2_S2_S2_S2_S2_S2_S2_EEvPKT0_PKT1_PT2_15HIP_vector_typeIjLj3EESC_SC_jSC_SC_SC_SC_SC_SC_iiiiiiiiiiiDpT3_: ; @_ZL19k_bin_bcast_unravelIXadL_ZL6op_mulffEE6__halfS0_S0_JPKS0_S2_S2_S2_S2_S2_S2_S2_EEvPKT0_PKT1_PT2_15HIP_vector_typeIjLj3EESC_SC_jSC_SC_SC_SC_SC_SC_iiiiiiiiiiiDpT3_
; %bb.0:
	s_load_dword s0, s[4:5], 0x104
	s_load_dwordx8 s[8:15], s[4:5], 0x38
	s_waitcnt lgkmcnt(0)
	s_and_b32 s0, s0, 0xffff
	s_mul_i32 s6, s6, s0
	v_add_u32_e32 v0, s6, v0
	v_mul_hi_u32 v1, v0, s10
	s_load_dwordx4 s[0:3], s[4:5], 0x18
	s_waitcnt lgkmcnt(0)
	s_load_dword s3, s[4:5], 0x2c
	v_add_u32_e32 v1, v0, v1
	v_lshrrev_b32_e32 v1, s11, v1
	v_mul_lo_u32 v2, v1, s12
	v_sub_u32_e32 v0, v0, v2
	v_mul_hi_u32 v2, v0, s13
	v_add_u32_e32 v2, v0, v2
	v_lshrrev_b32_e32 v3, s14, v2
	v_mul_lo_u32 v2, v3, s15
	v_cmp_gt_u32_e32 vcc, s8, v3
	v_sub_u32_e32 v0, v0, v2
	v_mul_hi_u32 v2, v0, s0
	v_add_u32_e32 v2, v0, v2
	v_lshrrev_b32_e32 v4, s1, v2
	v_mul_lo_u32 v2, v4, s2
	s_waitcnt lgkmcnt(0)
	v_cmp_gt_u32_e64 s[0:1], s3, v4
	v_sub_u32_e32 v0, v0, v2
	v_cmp_gt_u32_e64 s[2:3], s2, v0
	s_and_b64 s[0:1], s[2:3], s[0:1]
	s_and_b64 s[0:1], s[0:1], vcc
	v_cmp_gt_u32_e32 vcc, s9, v1
	s_and_b64 s[0:1], vcc, s[0:1]
	s_and_saveexec_b64 s[2:3], s[0:1]
	s_cbranch_execz .LBB146_4
; %bb.1:
	s_load_dwordx2 s[6:7], s[4:5], 0x0
	s_load_dwordx4 s[0:3], s[4:5], 0xa8
	s_load_dwordx8 s[24:31], s[4:5], 0x88
	s_load_dwordx4 s[16:19], s[4:5], 0x78
	s_load_dwordx8 s[8:15], s[4:5], 0x58
	v_mov_b32_e32 v2, 0
	s_waitcnt lgkmcnt(0)
	s_cmp_eq_u64 s[6:7], 0
	v_mov_b32_e32 v5, 0
	s_cbranch_scc1 .LBB146_3
; %bb.2:
	v_mul_lo_u32 v5, v1, s30
	v_mul_lo_u32 v7, v3, s29
	v_mul_lo_u32 v8, v4, s28
	v_mov_b32_e32 v6, 0
	v_mov_b32_e32 v9, s7
	v_add3_u32 v5, v7, v5, v8
	v_lshlrev_b64 v[7:8], 1, v[5:6]
	v_mul_lo_u32 v5, v0, s27
	v_add_co_u32_e32 v7, vcc, s6, v7
	v_addc_co_u32_e32 v8, vcc, v9, v8, vcc
	v_lshlrev_b64 v[5:6], 1, v[5:6]
	v_add_co_u32_e32 v5, vcc, v7, v5
	v_addc_co_u32_e32 v6, vcc, v8, v6, vcc
	global_load_ushort v5, v[5:6], off
	s_waitcnt vmcnt(0)
	v_cvt_f32_f16_e32 v5, v5
.LBB146_3:
	v_mul_hi_u32 v6, s11, v4
	v_mul_hi_u32 v7, s14, v3
	;; [unrolled: 1-line block ×4, first 2 shown]
	v_add_u32_e32 v6, v4, v6
	v_add_u32_e32 v7, v3, v7
	;; [unrolled: 1-line block ×3, first 2 shown]
	v_lshrrev_b32_e32 v6, s12, v6
	v_lshrrev_b32_e32 v7, s15, v7
	;; [unrolled: 1-line block ×3, first 2 shown]
	v_add_u32_e32 v9, v0, v9
	v_mul_lo_u32 v6, v6, s13
	v_mul_lo_u32 v7, v7, s16
	;; [unrolled: 1-line block ×3, first 2 shown]
	v_lshrrev_b32_e32 v9, s9, v9
	v_mul_lo_u32 v9, v9, s10
	v_sub_u32_e32 v6, v4, v6
	v_sub_u32_e32 v7, v3, v7
	;; [unrolled: 1-line block ×3, first 2 shown]
	v_mul_lo_u32 v8, v8, s2
	v_mul_lo_u32 v7, v7, s1
	;; [unrolled: 1-line block ×3, first 2 shown]
	v_sub_u32_e32 v9, v0, v9
	v_mul_lo_u32 v9, v9, s31
	s_load_dwordx16 s[8:23], s[4:5], 0xb8
	v_add3_u32 v6, v7, v8, v6
	v_ashrrev_i32_e32 v7, 31, v6
	v_ashrrev_i32_e32 v8, 31, v9
	v_add_co_u32_e32 v6, vcc, v9, v6
	v_addc_co_u32_e32 v7, vcc, v8, v7, vcc
	v_lshlrev_b64 v[6:7], 1, v[6:7]
	s_waitcnt lgkmcnt(0)
	v_mov_b32_e32 v9, s9
	v_add_co_u32_e32 v8, vcc, s8, v6
	v_addc_co_u32_e32 v9, vcc, v9, v7, vcc
	global_load_ushort v10, v[8:9], off
	v_mov_b32_e32 v9, s11
	v_add_co_u32_e32 v8, vcc, s10, v6
	v_addc_co_u32_e32 v9, vcc, v9, v7, vcc
	global_load_ushort v11, v[8:9], off
	;; [unrolled: 4-line block ×8, first 2 shown]
	v_mul_lo_u32 v7, v1, s26
	v_mul_lo_u32 v9, v3, s25
	;; [unrolled: 1-line block ×3, first 2 shown]
	s_load_dwordx2 s[0:1], s[4:5], 0x10
	v_mov_b32_e32 v1, v2
	v_lshlrev_b64 v[3:4], 1, v[0:1]
	v_add3_u32 v1, v9, v7, v16
	v_lshlrev_b64 v[0:1], 1, v[1:2]
	s_waitcnt lgkmcnt(0)
	v_mov_b32_e32 v2, s1
	v_add_co_u32_e32 v0, vcc, s0, v0
	v_addc_co_u32_e32 v1, vcc, v2, v1, vcc
	v_add_co_u32_e32 v0, vcc, v0, v3
	v_addc_co_u32_e32 v1, vcc, v1, v4, vcc
	s_waitcnt vmcnt(7)
	v_cvt_f32_f16_e32 v2, v10
	v_mul_f32_e32 v2, v5, v2
	s_waitcnt vmcnt(6)
	v_cvt_f32_f16_e32 v7, v11
	v_mul_f32_e32 v2, v2, v7
	;; [unrolled: 3-line block ×7, first 2 shown]
	s_waitcnt vmcnt(0)
	v_fma_mixlo_f16 v2, v2, v6, 0 op_sel_hi:[0,1,0]
	global_store_short v[0:1], v2, off
.LBB146_4:
	s_endpgm
	.section	.rodata,"a",@progbits
	.p2align	6, 0x0
	.amdhsa_kernel _ZL19k_bin_bcast_unravelIXadL_ZL6op_mulffEE6__halfS0_S0_JPKS0_S2_S2_S2_S2_S2_S2_S2_EEvPKT0_PKT1_PT2_15HIP_vector_typeIjLj3EESC_SC_jSC_SC_SC_SC_SC_SC_iiiiiiiiiiiDpT3_
		.amdhsa_group_segment_fixed_size 0
		.amdhsa_private_segment_fixed_size 0
		.amdhsa_kernarg_size 504
		.amdhsa_user_sgpr_count 6
		.amdhsa_user_sgpr_private_segment_buffer 1
		.amdhsa_user_sgpr_dispatch_ptr 0
		.amdhsa_user_sgpr_queue_ptr 0
		.amdhsa_user_sgpr_kernarg_segment_ptr 1
		.amdhsa_user_sgpr_dispatch_id 0
		.amdhsa_user_sgpr_flat_scratch_init 0
		.amdhsa_user_sgpr_private_segment_size 0
		.amdhsa_uses_dynamic_stack 0
		.amdhsa_system_sgpr_private_segment_wavefront_offset 0
		.amdhsa_system_sgpr_workgroup_id_x 1
		.amdhsa_system_sgpr_workgroup_id_y 0
		.amdhsa_system_sgpr_workgroup_id_z 0
		.amdhsa_system_sgpr_workgroup_info 0
		.amdhsa_system_vgpr_workitem_id 0
		.amdhsa_next_free_vgpr 17
		.amdhsa_next_free_sgpr 32
		.amdhsa_reserve_vcc 1
		.amdhsa_reserve_flat_scratch 0
		.amdhsa_float_round_mode_32 0
		.amdhsa_float_round_mode_16_64 0
		.amdhsa_float_denorm_mode_32 3
		.amdhsa_float_denorm_mode_16_64 3
		.amdhsa_dx10_clamp 1
		.amdhsa_ieee_mode 1
		.amdhsa_fp16_overflow 0
		.amdhsa_exception_fp_ieee_invalid_op 0
		.amdhsa_exception_fp_denorm_src 0
		.amdhsa_exception_fp_ieee_div_zero 0
		.amdhsa_exception_fp_ieee_overflow 0
		.amdhsa_exception_fp_ieee_underflow 0
		.amdhsa_exception_fp_ieee_inexact 0
		.amdhsa_exception_int_div_zero 0
	.end_amdhsa_kernel
	.section	.text._ZL19k_bin_bcast_unravelIXadL_ZL6op_mulffEE6__halfS0_S0_JPKS0_S2_S2_S2_S2_S2_S2_S2_EEvPKT0_PKT1_PT2_15HIP_vector_typeIjLj3EESC_SC_jSC_SC_SC_SC_SC_SC_iiiiiiiiiiiDpT3_,"axG",@progbits,_ZL19k_bin_bcast_unravelIXadL_ZL6op_mulffEE6__halfS0_S0_JPKS0_S2_S2_S2_S2_S2_S2_S2_EEvPKT0_PKT1_PT2_15HIP_vector_typeIjLj3EESC_SC_jSC_SC_SC_SC_SC_SC_iiiiiiiiiiiDpT3_,comdat
.Lfunc_end146:
	.size	_ZL19k_bin_bcast_unravelIXadL_ZL6op_mulffEE6__halfS0_S0_JPKS0_S2_S2_S2_S2_S2_S2_S2_EEvPKT0_PKT1_PT2_15HIP_vector_typeIjLj3EESC_SC_jSC_SC_SC_SC_SC_SC_iiiiiiiiiiiDpT3_, .Lfunc_end146-_ZL19k_bin_bcast_unravelIXadL_ZL6op_mulffEE6__halfS0_S0_JPKS0_S2_S2_S2_S2_S2_S2_S2_EEvPKT0_PKT1_PT2_15HIP_vector_typeIjLj3EESC_SC_jSC_SC_SC_SC_SC_SC_iiiiiiiiiiiDpT3_
                                        ; -- End function
	.set _ZL19k_bin_bcast_unravelIXadL_ZL6op_mulffEE6__halfS0_S0_JPKS0_S2_S2_S2_S2_S2_S2_S2_EEvPKT0_PKT1_PT2_15HIP_vector_typeIjLj3EESC_SC_jSC_SC_SC_SC_SC_SC_iiiiiiiiiiiDpT3_.num_vgpr, 17
	.set _ZL19k_bin_bcast_unravelIXadL_ZL6op_mulffEE6__halfS0_S0_JPKS0_S2_S2_S2_S2_S2_S2_S2_EEvPKT0_PKT1_PT2_15HIP_vector_typeIjLj3EESC_SC_jSC_SC_SC_SC_SC_SC_iiiiiiiiiiiDpT3_.num_agpr, 0
	.set _ZL19k_bin_bcast_unravelIXadL_ZL6op_mulffEE6__halfS0_S0_JPKS0_S2_S2_S2_S2_S2_S2_S2_EEvPKT0_PKT1_PT2_15HIP_vector_typeIjLj3EESC_SC_jSC_SC_SC_SC_SC_SC_iiiiiiiiiiiDpT3_.numbered_sgpr, 32
	.set _ZL19k_bin_bcast_unravelIXadL_ZL6op_mulffEE6__halfS0_S0_JPKS0_S2_S2_S2_S2_S2_S2_S2_EEvPKT0_PKT1_PT2_15HIP_vector_typeIjLj3EESC_SC_jSC_SC_SC_SC_SC_SC_iiiiiiiiiiiDpT3_.num_named_barrier, 0
	.set _ZL19k_bin_bcast_unravelIXadL_ZL6op_mulffEE6__halfS0_S0_JPKS0_S2_S2_S2_S2_S2_S2_S2_EEvPKT0_PKT1_PT2_15HIP_vector_typeIjLj3EESC_SC_jSC_SC_SC_SC_SC_SC_iiiiiiiiiiiDpT3_.private_seg_size, 0
	.set _ZL19k_bin_bcast_unravelIXadL_ZL6op_mulffEE6__halfS0_S0_JPKS0_S2_S2_S2_S2_S2_S2_S2_EEvPKT0_PKT1_PT2_15HIP_vector_typeIjLj3EESC_SC_jSC_SC_SC_SC_SC_SC_iiiiiiiiiiiDpT3_.uses_vcc, 1
	.set _ZL19k_bin_bcast_unravelIXadL_ZL6op_mulffEE6__halfS0_S0_JPKS0_S2_S2_S2_S2_S2_S2_S2_EEvPKT0_PKT1_PT2_15HIP_vector_typeIjLj3EESC_SC_jSC_SC_SC_SC_SC_SC_iiiiiiiiiiiDpT3_.uses_flat_scratch, 0
	.set _ZL19k_bin_bcast_unravelIXadL_ZL6op_mulffEE6__halfS0_S0_JPKS0_S2_S2_S2_S2_S2_S2_S2_EEvPKT0_PKT1_PT2_15HIP_vector_typeIjLj3EESC_SC_jSC_SC_SC_SC_SC_SC_iiiiiiiiiiiDpT3_.has_dyn_sized_stack, 0
	.set _ZL19k_bin_bcast_unravelIXadL_ZL6op_mulffEE6__halfS0_S0_JPKS0_S2_S2_S2_S2_S2_S2_S2_EEvPKT0_PKT1_PT2_15HIP_vector_typeIjLj3EESC_SC_jSC_SC_SC_SC_SC_SC_iiiiiiiiiiiDpT3_.has_recursion, 0
	.set _ZL19k_bin_bcast_unravelIXadL_ZL6op_mulffEE6__halfS0_S0_JPKS0_S2_S2_S2_S2_S2_S2_S2_EEvPKT0_PKT1_PT2_15HIP_vector_typeIjLj3EESC_SC_jSC_SC_SC_SC_SC_SC_iiiiiiiiiiiDpT3_.has_indirect_call, 0
	.section	.AMDGPU.csdata,"",@progbits
; Kernel info:
; codeLenInByte = 884
; TotalNumSgprs: 36
; NumVgprs: 17
; ScratchSize: 0
; MemoryBound: 0
; FloatMode: 240
; IeeeMode: 1
; LDSByteSize: 0 bytes/workgroup (compile time only)
; SGPRBlocks: 4
; VGPRBlocks: 4
; NumSGPRsForWavesPerEU: 36
; NumVGPRsForWavesPerEU: 17
; Occupancy: 10
; WaveLimiterHint : 1
; COMPUTE_PGM_RSRC2:SCRATCH_EN: 0
; COMPUTE_PGM_RSRC2:USER_SGPR: 6
; COMPUTE_PGM_RSRC2:TRAP_HANDLER: 0
; COMPUTE_PGM_RSRC2:TGID_X_EN: 1
; COMPUTE_PGM_RSRC2:TGID_Y_EN: 0
; COMPUTE_PGM_RSRC2:TGID_Z_EN: 0
; COMPUTE_PGM_RSRC2:TIDIG_COMP_CNT: 0
	.section	.text._ZL11k_bin_bcastIXadL_ZL6op_mulffEE6__halfS0_S0_JPKS0_S2_S2_S2_S2_S2_S2_S2_EEvPKT0_PKT1_PT2_iii15HIP_vector_typeIjLj3EESC_SC_SC_SC_iiiiiiiiiiiDpT3_,"axG",@progbits,_ZL11k_bin_bcastIXadL_ZL6op_mulffEE6__halfS0_S0_JPKS0_S2_S2_S2_S2_S2_S2_S2_EEvPKT0_PKT1_PT2_iii15HIP_vector_typeIjLj3EESC_SC_SC_SC_iiiiiiiiiiiDpT3_,comdat
	.globl	_ZL11k_bin_bcastIXadL_ZL6op_mulffEE6__halfS0_S0_JPKS0_S2_S2_S2_S2_S2_S2_S2_EEvPKT0_PKT1_PT2_iii15HIP_vector_typeIjLj3EESC_SC_SC_SC_iiiiiiiiiiiDpT3_ ; -- Begin function _ZL11k_bin_bcastIXadL_ZL6op_mulffEE6__halfS0_S0_JPKS0_S2_S2_S2_S2_S2_S2_S2_EEvPKT0_PKT1_PT2_iii15HIP_vector_typeIjLj3EESC_SC_SC_SC_iiiiiiiiiiiDpT3_
	.p2align	8
	.type	_ZL11k_bin_bcastIXadL_ZL6op_mulffEE6__halfS0_S0_JPKS0_S2_S2_S2_S2_S2_S2_S2_EEvPKT0_PKT1_PT2_iii15HIP_vector_typeIjLj3EESC_SC_SC_SC_iiiiiiiiiiiDpT3_,@function
_ZL11k_bin_bcastIXadL_ZL6op_mulffEE6__halfS0_S0_JPKS0_S2_S2_S2_S2_S2_S2_S2_EEvPKT0_PKT1_PT2_iii15HIP_vector_typeIjLj3EESC_SC_SC_SC_iiiiiiiiiiiDpT3_: ; @_ZL11k_bin_bcastIXadL_ZL6op_mulffEE6__halfS0_S0_JPKS0_S2_S2_S2_S2_S2_S2_S2_EEvPKT0_PKT1_PT2_iii15HIP_vector_typeIjLj3EESC_SC_SC_SC_iiiiiiiiiiiDpT3_
; %bb.0:
	s_load_dwordx2 s[0:1], s[4:5], 0xdc
	s_load_dwordx8 s[24:31], s[4:5], 0x18
	s_add_u32 s2, s4, 0xd0
	s_addc_u32 s3, s5, 0
	s_waitcnt lgkmcnt(0)
	s_and_b32 s1, s1, 0xffff
	s_mul_i32 s8, s8, s1
	v_add_u32_e32 v3, s8, v2
	v_mul_hi_u32 v2, v3, s27
	s_lshr_b32 s1, s0, 16
	s_and_b32 s27, s0, 0xffff
	s_mul_i32 s6, s6, s27
	v_add_u32_e32 v2, v3, v2
	v_lshrrev_b32_e32 v2, s28, v2
	v_mul_lo_u32 v4, v2, s29
	s_mul_i32 s7, s7, s1
	v_add_u32_e32 v0, s6, v0
	v_add_u32_e32 v1, s7, v1
	v_cmp_gt_u32_e32 vcc, s24, v0
	v_cmp_gt_u32_e64 s[0:1], s25, v1
	v_sub_u32_e32 v3, v3, v4
	s_and_b64 s[0:1], vcc, s[0:1]
	v_cmp_gt_u32_e32 vcc, s26, v2
	s_and_b64 s[0:1], s[0:1], vcc
	v_cmp_gt_u32_e32 vcc, s29, v3
	s_and_b64 s[0:1], s[0:1], vcc
	s_and_saveexec_b64 s[6:7], s[0:1]
	s_cbranch_execz .LBB147_6
; %bb.1:
	v_cmp_gt_i32_e32 vcc, s24, v0
	s_and_b64 exec, exec, vcc
	s_cbranch_execz .LBB147_6
; %bb.2:
	s_load_dwordx8 s[8:15], s[4:5], 0x3c
	s_load_dwordx8 s[36:43], s[4:5], 0x60
	s_load_dwordx4 s[16:19], s[4:5], 0x80
	s_load_dword s6, s[2:3], 0x0
	s_load_dword s0, s[4:5], 0x5c
	s_waitcnt lgkmcnt(0)
	v_mul_hi_u32 v4, s8, v1
	v_mul_hi_u32 v5, s11, v2
	;; [unrolled: 1-line block ×3, first 2 shown]
	v_mul_lo_u32 v7, v3, s42
	v_add_u32_e32 v4, v1, v4
	v_add_u32_e32 v5, v2, v5
	;; [unrolled: 1-line block ×3, first 2 shown]
	v_lshrrev_b32_e32 v4, s9, v4
	v_lshrrev_b32_e32 v5, s12, v5
	;; [unrolled: 1-line block ×3, first 2 shown]
	v_mul_lo_u32 v4, v4, s10
	v_mul_lo_u32 v5, v5, s13
	;; [unrolled: 1-line block ×5, first 2 shown]
	v_sub_u32_e32 v4, v1, v4
	v_sub_u32_e32 v5, v2, v5
	;; [unrolled: 1-line block ×3, first 2 shown]
	s_load_dword s25, s[4:5], 0x38
	s_load_dwordx2 s[0:1], s[4:5], 0x0
	s_load_dwordx2 s[2:3], s[4:5], 0x10
	v_mul_lo_u32 v6, v6, s18
	v_mul_lo_u32 v5, v5, s17
	;; [unrolled: 1-line block ×6, first 2 shown]
	v_add3_u32 v1, v8, v9, v7
	v_mov_b32_e32 v2, 0
	v_mov_b32_e32 v8, v2
	v_lshlrev_b64 v[1:2], 1, v[1:2]
	v_add3_u32 v4, v5, v6, v4
	v_add3_u32 v7, v10, v11, v3
	s_waitcnt lgkmcnt(0)
	v_mov_b32_e32 v3, s1
	v_add_co_u32_e32 v5, vcc, s0, v1
	v_addc_co_u32_e32 v6, vcc, v3, v2, vcc
	v_lshlrev_b64 v[1:2], 1, v[7:8]
	s_load_dwordx16 s[8:23], s[4:5], 0x90
	v_mov_b32_e32 v3, s3
	v_add_co_u32_e32 v7, vcc, s2, v1
	v_addc_co_u32_e32 v8, vcc, v3, v2, vcc
	s_cmp_lg_u64 s[0:1], 0
	v_mul_lo_u32 v2, s39, v0
	s_cselect_b64 s[0:1], -1, 0
	s_mul_i32 s6, s6, s27
	v_cndmask_b32_e64 v1, 0, 1, s[0:1]
	s_mov_b64 s[4:5], 0
	s_mul_i32 s7, s6, s39
	s_sub_i32 s25, 0, s25
	s_waitcnt lgkmcnt(0)
	v_mov_b32_e32 v9, s9
	v_mov_b32_e32 v10, s11
	;; [unrolled: 1-line block ×4, first 2 shown]
	v_cmp_ne_u32_e64 s[0:1], 1, v1
	v_mov_b32_e32 v13, s17
	v_mov_b32_e32 v14, s19
	;; [unrolled: 1-line block ×4, first 2 shown]
	s_branch .LBB147_4
.LBB147_3:                              ;   in Loop: Header=BB147_4 Depth=1
	v_mul_hi_u32 v1, s30, v0
	v_add_u32_e32 v2, s7, v2
	v_add_u32_e32 v1, v0, v1
	v_lshrrev_b32_e32 v1, s31, v1
	v_mad_u64_u32 v[17:18], s[2:3], s25, v1, v[0:1]
	v_mul_lo_u32 v1, v17, s43
	v_add_co_u32_e32 v17, vcc, v1, v4
	v_addc_co_u32_e64 v18, s[2:3], 0, 0, vcc
	v_lshlrev_b64 v[17:18], 1, v[17:18]
	v_ashrrev_i32_e32 v1, 31, v0
	v_add_co_u32_e32 v19, vcc, s8, v17
	v_addc_co_u32_e32 v20, vcc, v9, v18, vcc
	v_add_co_u32_e32 v21, vcc, s10, v17
	v_addc_co_u32_e32 v22, vcc, v10, v18, vcc
	;; [unrolled: 2-line block ×7, first 2 shown]
	global_load_ushort v19, v[19:20], off
	s_nop 0
	global_load_ushort v20, v[21:22], off
	s_nop 0
	global_load_ushort v21, v[23:24], off
	global_load_ushort v22, v[25:26], off
                                        ; kill: killed $vgpr23 killed $vgpr24
                                        ; kill: killed $vgpr25 killed $vgpr26
	s_nop 0
	global_load_ushort v23, v[27:28], off
	global_load_ushort v24, v[29:30], off
	;; [unrolled: 1-line block ×3, first 2 shown]
	v_add_co_u32_e32 v17, vcc, s22, v17
	v_addc_co_u32_e32 v18, vcc, v16, v18, vcc
	global_load_ushort v26, v[17:18], off
	v_lshlrev_b64 v[17:18], 1, v[0:1]
	v_add_u32_e32 v0, s6, v0
	v_cmp_le_i32_e32 vcc, s24, v0
	v_add_co_u32_e64 v17, s[2:3], v7, v17
	v_addc_co_u32_e64 v18, s[2:3], v8, v18, s[2:3]
	s_or_b64 s[4:5], vcc, s[4:5]
	s_waitcnt vmcnt(7)
	v_cvt_f32_f16_e32 v1, v19
	s_waitcnt vmcnt(6)
	v_cvt_f32_f16_e32 v19, v20
	;; [unrolled: 2-line block ×4, first 2 shown]
	v_mul_f32_e32 v1, v3, v1
	v_mul_f32_e32 v1, v1, v19
	s_waitcnt vmcnt(3)
	v_cvt_f32_f16_e32 v22, v23
	s_waitcnt vmcnt(2)
	v_cvt_f32_f16_e32 v23, v24
	;; [unrolled: 2-line block ×3, first 2 shown]
	v_mul_f32_e32 v1, v1, v20
	v_mul_f32_e32 v1, v1, v21
	;; [unrolled: 1-line block ×5, first 2 shown]
	s_waitcnt vmcnt(0)
	v_fma_mixlo_f16 v1, v1, v26, 0 op_sel_hi:[0,1,0]
	global_store_short v[17:18], v1, off
	s_andn2_b64 exec, exec, s[4:5]
	s_cbranch_execz .LBB147_6
.LBB147_4:                              ; =>This Inner Loop Header: Depth=1
	s_and_b64 vcc, exec, s[0:1]
	v_mov_b32_e32 v3, 0
	s_cbranch_vccnz .LBB147_3
; %bb.5:                                ;   in Loop: Header=BB147_4 Depth=1
	v_ashrrev_i32_e32 v3, 31, v2
	v_lshlrev_b64 v[17:18], 1, v[2:3]
	v_add_co_u32_e32 v17, vcc, v5, v17
	v_addc_co_u32_e32 v18, vcc, v6, v18, vcc
	global_load_ushort v1, v[17:18], off
	s_waitcnt vmcnt(0)
	v_cvt_f32_f16_e32 v3, v1
	s_branch .LBB147_3
.LBB147_6:
	s_endpgm
	.section	.rodata,"a",@progbits
	.p2align	6, 0x0
	.amdhsa_kernel _ZL11k_bin_bcastIXadL_ZL6op_mulffEE6__halfS0_S0_JPKS0_S2_S2_S2_S2_S2_S2_S2_EEvPKT0_PKT1_PT2_iii15HIP_vector_typeIjLj3EESC_SC_SC_SC_iiiiiiiiiiiDpT3_
		.amdhsa_group_segment_fixed_size 0
		.amdhsa_private_segment_fixed_size 0
		.amdhsa_kernarg_size 464
		.amdhsa_user_sgpr_count 6
		.amdhsa_user_sgpr_private_segment_buffer 1
		.amdhsa_user_sgpr_dispatch_ptr 0
		.amdhsa_user_sgpr_queue_ptr 0
		.amdhsa_user_sgpr_kernarg_segment_ptr 1
		.amdhsa_user_sgpr_dispatch_id 0
		.amdhsa_user_sgpr_flat_scratch_init 0
		.amdhsa_user_sgpr_private_segment_size 0
		.amdhsa_uses_dynamic_stack 0
		.amdhsa_system_sgpr_private_segment_wavefront_offset 0
		.amdhsa_system_sgpr_workgroup_id_x 1
		.amdhsa_system_sgpr_workgroup_id_y 1
		.amdhsa_system_sgpr_workgroup_id_z 1
		.amdhsa_system_sgpr_workgroup_info 0
		.amdhsa_system_vgpr_workitem_id 2
		.amdhsa_next_free_vgpr 33
		.amdhsa_next_free_sgpr 44
		.amdhsa_reserve_vcc 1
		.amdhsa_reserve_flat_scratch 0
		.amdhsa_float_round_mode_32 0
		.amdhsa_float_round_mode_16_64 0
		.amdhsa_float_denorm_mode_32 3
		.amdhsa_float_denorm_mode_16_64 3
		.amdhsa_dx10_clamp 1
		.amdhsa_ieee_mode 1
		.amdhsa_fp16_overflow 0
		.amdhsa_exception_fp_ieee_invalid_op 0
		.amdhsa_exception_fp_denorm_src 0
		.amdhsa_exception_fp_ieee_div_zero 0
		.amdhsa_exception_fp_ieee_overflow 0
		.amdhsa_exception_fp_ieee_underflow 0
		.amdhsa_exception_fp_ieee_inexact 0
		.amdhsa_exception_int_div_zero 0
	.end_amdhsa_kernel
	.section	.text._ZL11k_bin_bcastIXadL_ZL6op_mulffEE6__halfS0_S0_JPKS0_S2_S2_S2_S2_S2_S2_S2_EEvPKT0_PKT1_PT2_iii15HIP_vector_typeIjLj3EESC_SC_SC_SC_iiiiiiiiiiiDpT3_,"axG",@progbits,_ZL11k_bin_bcastIXadL_ZL6op_mulffEE6__halfS0_S0_JPKS0_S2_S2_S2_S2_S2_S2_S2_EEvPKT0_PKT1_PT2_iii15HIP_vector_typeIjLj3EESC_SC_SC_SC_iiiiiiiiiiiDpT3_,comdat
.Lfunc_end147:
	.size	_ZL11k_bin_bcastIXadL_ZL6op_mulffEE6__halfS0_S0_JPKS0_S2_S2_S2_S2_S2_S2_S2_EEvPKT0_PKT1_PT2_iii15HIP_vector_typeIjLj3EESC_SC_SC_SC_iiiiiiiiiiiDpT3_, .Lfunc_end147-_ZL11k_bin_bcastIXadL_ZL6op_mulffEE6__halfS0_S0_JPKS0_S2_S2_S2_S2_S2_S2_S2_EEvPKT0_PKT1_PT2_iii15HIP_vector_typeIjLj3EESC_SC_SC_SC_iiiiiiiiiiiDpT3_
                                        ; -- End function
	.set _ZL11k_bin_bcastIXadL_ZL6op_mulffEE6__halfS0_S0_JPKS0_S2_S2_S2_S2_S2_S2_S2_EEvPKT0_PKT1_PT2_iii15HIP_vector_typeIjLj3EESC_SC_SC_SC_iiiiiiiiiiiDpT3_.num_vgpr, 33
	.set _ZL11k_bin_bcastIXadL_ZL6op_mulffEE6__halfS0_S0_JPKS0_S2_S2_S2_S2_S2_S2_S2_EEvPKT0_PKT1_PT2_iii15HIP_vector_typeIjLj3EESC_SC_SC_SC_iiiiiiiiiiiDpT3_.num_agpr, 0
	.set _ZL11k_bin_bcastIXadL_ZL6op_mulffEE6__halfS0_S0_JPKS0_S2_S2_S2_S2_S2_S2_S2_EEvPKT0_PKT1_PT2_iii15HIP_vector_typeIjLj3EESC_SC_SC_SC_iiiiiiiiiiiDpT3_.numbered_sgpr, 44
	.set _ZL11k_bin_bcastIXadL_ZL6op_mulffEE6__halfS0_S0_JPKS0_S2_S2_S2_S2_S2_S2_S2_EEvPKT0_PKT1_PT2_iii15HIP_vector_typeIjLj3EESC_SC_SC_SC_iiiiiiiiiiiDpT3_.num_named_barrier, 0
	.set _ZL11k_bin_bcastIXadL_ZL6op_mulffEE6__halfS0_S0_JPKS0_S2_S2_S2_S2_S2_S2_S2_EEvPKT0_PKT1_PT2_iii15HIP_vector_typeIjLj3EESC_SC_SC_SC_iiiiiiiiiiiDpT3_.private_seg_size, 0
	.set _ZL11k_bin_bcastIXadL_ZL6op_mulffEE6__halfS0_S0_JPKS0_S2_S2_S2_S2_S2_S2_S2_EEvPKT0_PKT1_PT2_iii15HIP_vector_typeIjLj3EESC_SC_SC_SC_iiiiiiiiiiiDpT3_.uses_vcc, 1
	.set _ZL11k_bin_bcastIXadL_ZL6op_mulffEE6__halfS0_S0_JPKS0_S2_S2_S2_S2_S2_S2_S2_EEvPKT0_PKT1_PT2_iii15HIP_vector_typeIjLj3EESC_SC_SC_SC_iiiiiiiiiiiDpT3_.uses_flat_scratch, 0
	.set _ZL11k_bin_bcastIXadL_ZL6op_mulffEE6__halfS0_S0_JPKS0_S2_S2_S2_S2_S2_S2_S2_EEvPKT0_PKT1_PT2_iii15HIP_vector_typeIjLj3EESC_SC_SC_SC_iiiiiiiiiiiDpT3_.has_dyn_sized_stack, 0
	.set _ZL11k_bin_bcastIXadL_ZL6op_mulffEE6__halfS0_S0_JPKS0_S2_S2_S2_S2_S2_S2_S2_EEvPKT0_PKT1_PT2_iii15HIP_vector_typeIjLj3EESC_SC_SC_SC_iiiiiiiiiiiDpT3_.has_recursion, 0
	.set _ZL11k_bin_bcastIXadL_ZL6op_mulffEE6__halfS0_S0_JPKS0_S2_S2_S2_S2_S2_S2_S2_EEvPKT0_PKT1_PT2_iii15HIP_vector_typeIjLj3EESC_SC_SC_SC_iiiiiiiiiiiDpT3_.has_indirect_call, 0
	.section	.AMDGPU.csdata,"",@progbits
; Kernel info:
; codeLenInByte = 956
; TotalNumSgprs: 48
; NumVgprs: 33
; ScratchSize: 0
; MemoryBound: 0
; FloatMode: 240
; IeeeMode: 1
; LDSByteSize: 0 bytes/workgroup (compile time only)
; SGPRBlocks: 5
; VGPRBlocks: 8
; NumSGPRsForWavesPerEU: 48
; NumVGPRsForWavesPerEU: 33
; Occupancy: 7
; WaveLimiterHint : 1
; COMPUTE_PGM_RSRC2:SCRATCH_EN: 0
; COMPUTE_PGM_RSRC2:USER_SGPR: 6
; COMPUTE_PGM_RSRC2:TRAP_HANDLER: 0
; COMPUTE_PGM_RSRC2:TGID_X_EN: 1
; COMPUTE_PGM_RSRC2:TGID_Y_EN: 1
; COMPUTE_PGM_RSRC2:TGID_Z_EN: 1
; COMPUTE_PGM_RSRC2:TIDIG_COMP_CNT: 2
	.section	.text._ZL19k_bin_bcast_unravelIXadL_ZL6op_mulffEE6__halffS0_JPKfS2_S2_S2_S2_S2_S2_S2_EEvPKT0_PKT1_PT2_15HIP_vector_typeIjLj3EESC_SC_jSC_SC_SC_SC_SC_SC_iiiiiiiiiiiDpT3_,"axG",@progbits,_ZL19k_bin_bcast_unravelIXadL_ZL6op_mulffEE6__halffS0_JPKfS2_S2_S2_S2_S2_S2_S2_EEvPKT0_PKT1_PT2_15HIP_vector_typeIjLj3EESC_SC_jSC_SC_SC_SC_SC_SC_iiiiiiiiiiiDpT3_,comdat
	.globl	_ZL19k_bin_bcast_unravelIXadL_ZL6op_mulffEE6__halffS0_JPKfS2_S2_S2_S2_S2_S2_S2_EEvPKT0_PKT1_PT2_15HIP_vector_typeIjLj3EESC_SC_jSC_SC_SC_SC_SC_SC_iiiiiiiiiiiDpT3_ ; -- Begin function _ZL19k_bin_bcast_unravelIXadL_ZL6op_mulffEE6__halffS0_JPKfS2_S2_S2_S2_S2_S2_S2_EEvPKT0_PKT1_PT2_15HIP_vector_typeIjLj3EESC_SC_jSC_SC_SC_SC_SC_SC_iiiiiiiiiiiDpT3_
	.p2align	8
	.type	_ZL19k_bin_bcast_unravelIXadL_ZL6op_mulffEE6__halffS0_JPKfS2_S2_S2_S2_S2_S2_S2_EEvPKT0_PKT1_PT2_15HIP_vector_typeIjLj3EESC_SC_jSC_SC_SC_SC_SC_SC_iiiiiiiiiiiDpT3_,@function
_ZL19k_bin_bcast_unravelIXadL_ZL6op_mulffEE6__halffS0_JPKfS2_S2_S2_S2_S2_S2_S2_EEvPKT0_PKT1_PT2_15HIP_vector_typeIjLj3EESC_SC_jSC_SC_SC_SC_SC_SC_iiiiiiiiiiiDpT3_: ; @_ZL19k_bin_bcast_unravelIXadL_ZL6op_mulffEE6__halffS0_JPKfS2_S2_S2_S2_S2_S2_S2_EEvPKT0_PKT1_PT2_15HIP_vector_typeIjLj3EESC_SC_jSC_SC_SC_SC_SC_SC_iiiiiiiiiiiDpT3_
; %bb.0:
	s_load_dword s0, s[4:5], 0x104
	s_load_dwordx8 s[8:15], s[4:5], 0x38
	s_waitcnt lgkmcnt(0)
	s_and_b32 s0, s0, 0xffff
	s_mul_i32 s6, s6, s0
	v_add_u32_e32 v0, s6, v0
	v_mul_hi_u32 v1, v0, s10
	s_load_dwordx4 s[0:3], s[4:5], 0x18
	s_waitcnt lgkmcnt(0)
	s_load_dword s3, s[4:5], 0x2c
	v_add_u32_e32 v1, v0, v1
	v_lshrrev_b32_e32 v1, s11, v1
	v_mul_lo_u32 v2, v1, s12
	v_sub_u32_e32 v0, v0, v2
	v_mul_hi_u32 v2, v0, s13
	v_add_u32_e32 v2, v0, v2
	v_lshrrev_b32_e32 v3, s14, v2
	v_mul_lo_u32 v2, v3, s15
	v_cmp_gt_u32_e32 vcc, s8, v3
	v_sub_u32_e32 v0, v0, v2
	v_mul_hi_u32 v2, v0, s0
	v_add_u32_e32 v2, v0, v2
	v_lshrrev_b32_e32 v4, s1, v2
	v_mul_lo_u32 v2, v4, s2
	s_waitcnt lgkmcnt(0)
	v_cmp_gt_u32_e64 s[0:1], s3, v4
	v_sub_u32_e32 v0, v0, v2
	v_cmp_gt_u32_e64 s[2:3], s2, v0
	s_and_b64 s[0:1], s[2:3], s[0:1]
	s_and_b64 s[0:1], s[0:1], vcc
	v_cmp_gt_u32_e32 vcc, s9, v1
	s_and_b64 s[0:1], vcc, s[0:1]
	s_and_saveexec_b64 s[2:3], s[0:1]
	s_cbranch_execz .LBB148_4
; %bb.1:
	s_load_dwordx2 s[6:7], s[4:5], 0x0
	s_load_dwordx4 s[0:3], s[4:5], 0xa8
	s_load_dwordx8 s[24:31], s[4:5], 0x88
	s_load_dwordx4 s[16:19], s[4:5], 0x78
	s_load_dwordx8 s[8:15], s[4:5], 0x58
	v_mov_b32_e32 v2, 0
	s_waitcnt lgkmcnt(0)
	s_cmp_eq_u64 s[6:7], 0
	v_mov_b32_e32 v5, 0
	s_cbranch_scc1 .LBB148_3
; %bb.2:
	v_mul_lo_u32 v5, v1, s30
	v_mul_lo_u32 v7, v3, s29
	;; [unrolled: 1-line block ×3, first 2 shown]
	v_mov_b32_e32 v6, 0
	v_mov_b32_e32 v9, s7
	v_add3_u32 v5, v7, v5, v8
	v_lshlrev_b64 v[7:8], 1, v[5:6]
	v_mul_lo_u32 v5, v0, s27
	v_add_co_u32_e32 v7, vcc, s6, v7
	v_addc_co_u32_e32 v8, vcc, v9, v8, vcc
	v_lshlrev_b64 v[5:6], 1, v[5:6]
	v_add_co_u32_e32 v5, vcc, v7, v5
	v_addc_co_u32_e32 v6, vcc, v8, v6, vcc
	global_load_ushort v5, v[5:6], off
	s_waitcnt vmcnt(0)
	v_cvt_f32_f16_e32 v5, v5
.LBB148_3:
	v_mul_hi_u32 v6, s11, v4
	v_mul_hi_u32 v7, s14, v3
	;; [unrolled: 1-line block ×4, first 2 shown]
	v_add_u32_e32 v6, v4, v6
	v_add_u32_e32 v7, v3, v7
	v_add_u32_e32 v8, v1, v8
	v_lshrrev_b32_e32 v6, s12, v6
	v_lshrrev_b32_e32 v7, s15, v7
	;; [unrolled: 1-line block ×3, first 2 shown]
	v_add_u32_e32 v9, v0, v9
	v_mul_lo_u32 v6, v6, s13
	v_mul_lo_u32 v7, v7, s16
	;; [unrolled: 1-line block ×3, first 2 shown]
	v_lshrrev_b32_e32 v9, s9, v9
	v_mul_lo_u32 v9, v9, s10
	v_sub_u32_e32 v6, v4, v6
	v_sub_u32_e32 v7, v3, v7
	;; [unrolled: 1-line block ×3, first 2 shown]
	v_mul_lo_u32 v8, v8, s2
	v_mul_lo_u32 v7, v7, s1
	;; [unrolled: 1-line block ×3, first 2 shown]
	v_sub_u32_e32 v9, v0, v9
	v_mul_lo_u32 v9, v9, s31
	s_load_dwordx16 s[8:23], s[4:5], 0xb8
	v_add3_u32 v6, v7, v8, v6
	v_ashrrev_i32_e32 v7, 31, v6
	v_ashrrev_i32_e32 v8, 31, v9
	v_add_co_u32_e32 v6, vcc, v9, v6
	v_addc_co_u32_e32 v7, vcc, v8, v7, vcc
	v_lshlrev_b64 v[6:7], 2, v[6:7]
	s_waitcnt lgkmcnt(0)
	v_mov_b32_e32 v9, s9
	v_add_co_u32_e32 v8, vcc, s8, v6
	v_addc_co_u32_e32 v9, vcc, v9, v7, vcc
	global_load_dword v10, v[8:9], off
	v_mov_b32_e32 v9, s11
	v_add_co_u32_e32 v8, vcc, s10, v6
	v_addc_co_u32_e32 v9, vcc, v9, v7, vcc
	global_load_dword v11, v[8:9], off
	;; [unrolled: 4-line block ×8, first 2 shown]
	v_mul_lo_u32 v7, v1, s26
	v_mul_lo_u32 v9, v3, s25
	;; [unrolled: 1-line block ×3, first 2 shown]
	s_load_dwordx2 s[0:1], s[4:5], 0x10
	v_mov_b32_e32 v1, v2
	v_lshlrev_b64 v[3:4], 1, v[0:1]
	v_add3_u32 v1, v9, v7, v16
	v_lshlrev_b64 v[0:1], 1, v[1:2]
	s_waitcnt lgkmcnt(0)
	v_mov_b32_e32 v2, s1
	v_add_co_u32_e32 v0, vcc, s0, v0
	v_addc_co_u32_e32 v1, vcc, v2, v1, vcc
	v_add_co_u32_e32 v0, vcc, v0, v3
	v_addc_co_u32_e32 v1, vcc, v1, v4, vcc
	s_waitcnt vmcnt(7)
	v_mul_f32_e32 v2, v5, v10
	s_waitcnt vmcnt(6)
	v_mul_f32_e32 v2, v2, v11
	;; [unrolled: 2-line block ×7, first 2 shown]
	s_waitcnt vmcnt(0)
	v_fma_mixlo_f16 v2, v2, v6, 0
	global_store_short v[0:1], v2, off
.LBB148_4:
	s_endpgm
	.section	.rodata,"a",@progbits
	.p2align	6, 0x0
	.amdhsa_kernel _ZL19k_bin_bcast_unravelIXadL_ZL6op_mulffEE6__halffS0_JPKfS2_S2_S2_S2_S2_S2_S2_EEvPKT0_PKT1_PT2_15HIP_vector_typeIjLj3EESC_SC_jSC_SC_SC_SC_SC_SC_iiiiiiiiiiiDpT3_
		.amdhsa_group_segment_fixed_size 0
		.amdhsa_private_segment_fixed_size 0
		.amdhsa_kernarg_size 504
		.amdhsa_user_sgpr_count 6
		.amdhsa_user_sgpr_private_segment_buffer 1
		.amdhsa_user_sgpr_dispatch_ptr 0
		.amdhsa_user_sgpr_queue_ptr 0
		.amdhsa_user_sgpr_kernarg_segment_ptr 1
		.amdhsa_user_sgpr_dispatch_id 0
		.amdhsa_user_sgpr_flat_scratch_init 0
		.amdhsa_user_sgpr_private_segment_size 0
		.amdhsa_uses_dynamic_stack 0
		.amdhsa_system_sgpr_private_segment_wavefront_offset 0
		.amdhsa_system_sgpr_workgroup_id_x 1
		.amdhsa_system_sgpr_workgroup_id_y 0
		.amdhsa_system_sgpr_workgroup_id_z 0
		.amdhsa_system_sgpr_workgroup_info 0
		.amdhsa_system_vgpr_workitem_id 0
		.amdhsa_next_free_vgpr 17
		.amdhsa_next_free_sgpr 32
		.amdhsa_reserve_vcc 1
		.amdhsa_reserve_flat_scratch 0
		.amdhsa_float_round_mode_32 0
		.amdhsa_float_round_mode_16_64 0
		.amdhsa_float_denorm_mode_32 3
		.amdhsa_float_denorm_mode_16_64 3
		.amdhsa_dx10_clamp 1
		.amdhsa_ieee_mode 1
		.amdhsa_fp16_overflow 0
		.amdhsa_exception_fp_ieee_invalid_op 0
		.amdhsa_exception_fp_denorm_src 0
		.amdhsa_exception_fp_ieee_div_zero 0
		.amdhsa_exception_fp_ieee_overflow 0
		.amdhsa_exception_fp_ieee_underflow 0
		.amdhsa_exception_fp_ieee_inexact 0
		.amdhsa_exception_int_div_zero 0
	.end_amdhsa_kernel
	.section	.text._ZL19k_bin_bcast_unravelIXadL_ZL6op_mulffEE6__halffS0_JPKfS2_S2_S2_S2_S2_S2_S2_EEvPKT0_PKT1_PT2_15HIP_vector_typeIjLj3EESC_SC_jSC_SC_SC_SC_SC_SC_iiiiiiiiiiiDpT3_,"axG",@progbits,_ZL19k_bin_bcast_unravelIXadL_ZL6op_mulffEE6__halffS0_JPKfS2_S2_S2_S2_S2_S2_S2_EEvPKT0_PKT1_PT2_15HIP_vector_typeIjLj3EESC_SC_jSC_SC_SC_SC_SC_SC_iiiiiiiiiiiDpT3_,comdat
.Lfunc_end148:
	.size	_ZL19k_bin_bcast_unravelIXadL_ZL6op_mulffEE6__halffS0_JPKfS2_S2_S2_S2_S2_S2_S2_EEvPKT0_PKT1_PT2_15HIP_vector_typeIjLj3EESC_SC_jSC_SC_SC_SC_SC_SC_iiiiiiiiiiiDpT3_, .Lfunc_end148-_ZL19k_bin_bcast_unravelIXadL_ZL6op_mulffEE6__halffS0_JPKfS2_S2_S2_S2_S2_S2_S2_EEvPKT0_PKT1_PT2_15HIP_vector_typeIjLj3EESC_SC_jSC_SC_SC_SC_SC_SC_iiiiiiiiiiiDpT3_
                                        ; -- End function
	.set _ZL19k_bin_bcast_unravelIXadL_ZL6op_mulffEE6__halffS0_JPKfS2_S2_S2_S2_S2_S2_S2_EEvPKT0_PKT1_PT2_15HIP_vector_typeIjLj3EESC_SC_jSC_SC_SC_SC_SC_SC_iiiiiiiiiiiDpT3_.num_vgpr, 17
	.set _ZL19k_bin_bcast_unravelIXadL_ZL6op_mulffEE6__halffS0_JPKfS2_S2_S2_S2_S2_S2_S2_EEvPKT0_PKT1_PT2_15HIP_vector_typeIjLj3EESC_SC_jSC_SC_SC_SC_SC_SC_iiiiiiiiiiiDpT3_.num_agpr, 0
	.set _ZL19k_bin_bcast_unravelIXadL_ZL6op_mulffEE6__halffS0_JPKfS2_S2_S2_S2_S2_S2_S2_EEvPKT0_PKT1_PT2_15HIP_vector_typeIjLj3EESC_SC_jSC_SC_SC_SC_SC_SC_iiiiiiiiiiiDpT3_.numbered_sgpr, 32
	.set _ZL19k_bin_bcast_unravelIXadL_ZL6op_mulffEE6__halffS0_JPKfS2_S2_S2_S2_S2_S2_S2_EEvPKT0_PKT1_PT2_15HIP_vector_typeIjLj3EESC_SC_jSC_SC_SC_SC_SC_SC_iiiiiiiiiiiDpT3_.num_named_barrier, 0
	.set _ZL19k_bin_bcast_unravelIXadL_ZL6op_mulffEE6__halffS0_JPKfS2_S2_S2_S2_S2_S2_S2_EEvPKT0_PKT1_PT2_15HIP_vector_typeIjLj3EESC_SC_jSC_SC_SC_SC_SC_SC_iiiiiiiiiiiDpT3_.private_seg_size, 0
	.set _ZL19k_bin_bcast_unravelIXadL_ZL6op_mulffEE6__halffS0_JPKfS2_S2_S2_S2_S2_S2_S2_EEvPKT0_PKT1_PT2_15HIP_vector_typeIjLj3EESC_SC_jSC_SC_SC_SC_SC_SC_iiiiiiiiiiiDpT3_.uses_vcc, 1
	.set _ZL19k_bin_bcast_unravelIXadL_ZL6op_mulffEE6__halffS0_JPKfS2_S2_S2_S2_S2_S2_S2_EEvPKT0_PKT1_PT2_15HIP_vector_typeIjLj3EESC_SC_jSC_SC_SC_SC_SC_SC_iiiiiiiiiiiDpT3_.uses_flat_scratch, 0
	.set _ZL19k_bin_bcast_unravelIXadL_ZL6op_mulffEE6__halffS0_JPKfS2_S2_S2_S2_S2_S2_S2_EEvPKT0_PKT1_PT2_15HIP_vector_typeIjLj3EESC_SC_jSC_SC_SC_SC_SC_SC_iiiiiiiiiiiDpT3_.has_dyn_sized_stack, 0
	.set _ZL19k_bin_bcast_unravelIXadL_ZL6op_mulffEE6__halffS0_JPKfS2_S2_S2_S2_S2_S2_S2_EEvPKT0_PKT1_PT2_15HIP_vector_typeIjLj3EESC_SC_jSC_SC_SC_SC_SC_SC_iiiiiiiiiiiDpT3_.has_recursion, 0
	.set _ZL19k_bin_bcast_unravelIXadL_ZL6op_mulffEE6__halffS0_JPKfS2_S2_S2_S2_S2_S2_S2_EEvPKT0_PKT1_PT2_15HIP_vector_typeIjLj3EESC_SC_jSC_SC_SC_SC_SC_SC_iiiiiiiiiiiDpT3_.has_indirect_call, 0
	.section	.AMDGPU.csdata,"",@progbits
; Kernel info:
; codeLenInByte = 856
; TotalNumSgprs: 36
; NumVgprs: 17
; ScratchSize: 0
; MemoryBound: 0
; FloatMode: 240
; IeeeMode: 1
; LDSByteSize: 0 bytes/workgroup (compile time only)
; SGPRBlocks: 4
; VGPRBlocks: 4
; NumSGPRsForWavesPerEU: 36
; NumVGPRsForWavesPerEU: 17
; Occupancy: 10
; WaveLimiterHint : 1
; COMPUTE_PGM_RSRC2:SCRATCH_EN: 0
; COMPUTE_PGM_RSRC2:USER_SGPR: 6
; COMPUTE_PGM_RSRC2:TRAP_HANDLER: 0
; COMPUTE_PGM_RSRC2:TGID_X_EN: 1
; COMPUTE_PGM_RSRC2:TGID_Y_EN: 0
; COMPUTE_PGM_RSRC2:TGID_Z_EN: 0
; COMPUTE_PGM_RSRC2:TIDIG_COMP_CNT: 0
	.section	.text._ZL11k_bin_bcastIXadL_ZL6op_mulffEE6__halffS0_JPKfS2_S2_S2_S2_S2_S2_S2_EEvPKT0_PKT1_PT2_iii15HIP_vector_typeIjLj3EESC_SC_SC_SC_iiiiiiiiiiiDpT3_,"axG",@progbits,_ZL11k_bin_bcastIXadL_ZL6op_mulffEE6__halffS0_JPKfS2_S2_S2_S2_S2_S2_S2_EEvPKT0_PKT1_PT2_iii15HIP_vector_typeIjLj3EESC_SC_SC_SC_iiiiiiiiiiiDpT3_,comdat
	.globl	_ZL11k_bin_bcastIXadL_ZL6op_mulffEE6__halffS0_JPKfS2_S2_S2_S2_S2_S2_S2_EEvPKT0_PKT1_PT2_iii15HIP_vector_typeIjLj3EESC_SC_SC_SC_iiiiiiiiiiiDpT3_ ; -- Begin function _ZL11k_bin_bcastIXadL_ZL6op_mulffEE6__halffS0_JPKfS2_S2_S2_S2_S2_S2_S2_EEvPKT0_PKT1_PT2_iii15HIP_vector_typeIjLj3EESC_SC_SC_SC_iiiiiiiiiiiDpT3_
	.p2align	8
	.type	_ZL11k_bin_bcastIXadL_ZL6op_mulffEE6__halffS0_JPKfS2_S2_S2_S2_S2_S2_S2_EEvPKT0_PKT1_PT2_iii15HIP_vector_typeIjLj3EESC_SC_SC_SC_iiiiiiiiiiiDpT3_,@function
_ZL11k_bin_bcastIXadL_ZL6op_mulffEE6__halffS0_JPKfS2_S2_S2_S2_S2_S2_S2_EEvPKT0_PKT1_PT2_iii15HIP_vector_typeIjLj3EESC_SC_SC_SC_iiiiiiiiiiiDpT3_: ; @_ZL11k_bin_bcastIXadL_ZL6op_mulffEE6__halffS0_JPKfS2_S2_S2_S2_S2_S2_S2_EEvPKT0_PKT1_PT2_iii15HIP_vector_typeIjLj3EESC_SC_SC_SC_iiiiiiiiiiiDpT3_
; %bb.0:
	s_load_dwordx2 s[0:1], s[4:5], 0xdc
	s_load_dwordx8 s[24:31], s[4:5], 0x18
	s_add_u32 s2, s4, 0xd0
	s_addc_u32 s3, s5, 0
	s_waitcnt lgkmcnt(0)
	s_and_b32 s1, s1, 0xffff
	s_mul_i32 s8, s8, s1
	v_add_u32_e32 v3, s8, v2
	v_mul_hi_u32 v2, v3, s27
	s_lshr_b32 s1, s0, 16
	s_and_b32 s27, s0, 0xffff
	s_mul_i32 s6, s6, s27
	v_add_u32_e32 v2, v3, v2
	v_lshrrev_b32_e32 v2, s28, v2
	v_mul_lo_u32 v4, v2, s29
	s_mul_i32 s7, s7, s1
	v_add_u32_e32 v0, s6, v0
	v_add_u32_e32 v1, s7, v1
	v_cmp_gt_u32_e32 vcc, s24, v0
	v_cmp_gt_u32_e64 s[0:1], s25, v1
	v_sub_u32_e32 v3, v3, v4
	s_and_b64 s[0:1], vcc, s[0:1]
	v_cmp_gt_u32_e32 vcc, s26, v2
	s_and_b64 s[0:1], s[0:1], vcc
	v_cmp_gt_u32_e32 vcc, s29, v3
	s_and_b64 s[0:1], s[0:1], vcc
	s_and_saveexec_b64 s[6:7], s[0:1]
	s_cbranch_execz .LBB149_6
; %bb.1:
	v_cmp_gt_i32_e32 vcc, s24, v0
	s_and_b64 exec, exec, vcc
	s_cbranch_execz .LBB149_6
; %bb.2:
	s_load_dwordx8 s[8:15], s[4:5], 0x3c
	s_load_dwordx8 s[36:43], s[4:5], 0x60
	s_load_dwordx4 s[16:19], s[4:5], 0x80
	s_load_dword s6, s[2:3], 0x0
	s_load_dword s0, s[4:5], 0x5c
	s_waitcnt lgkmcnt(0)
	v_mul_hi_u32 v4, s8, v1
	v_mul_hi_u32 v5, s11, v2
	;; [unrolled: 1-line block ×3, first 2 shown]
	v_mul_lo_u32 v7, v3, s42
	v_add_u32_e32 v4, v1, v4
	v_add_u32_e32 v5, v2, v5
	;; [unrolled: 1-line block ×3, first 2 shown]
	v_lshrrev_b32_e32 v4, s9, v4
	v_lshrrev_b32_e32 v5, s12, v5
	;; [unrolled: 1-line block ×3, first 2 shown]
	v_mul_lo_u32 v4, v4, s10
	v_mul_lo_u32 v5, v5, s13
	;; [unrolled: 1-line block ×5, first 2 shown]
	v_sub_u32_e32 v4, v1, v4
	v_sub_u32_e32 v5, v2, v5
	v_sub_u32_e32 v6, v3, v6
	s_load_dword s25, s[4:5], 0x38
	s_load_dwordx2 s[0:1], s[4:5], 0x0
	s_load_dwordx2 s[2:3], s[4:5], 0x10
	v_mul_lo_u32 v6, v6, s18
	v_mul_lo_u32 v5, v5, s17
	;; [unrolled: 1-line block ×6, first 2 shown]
	v_add3_u32 v1, v8, v9, v7
	v_mov_b32_e32 v2, 0
	v_mov_b32_e32 v8, v2
	v_lshlrev_b64 v[1:2], 1, v[1:2]
	v_add3_u32 v4, v5, v6, v4
	v_add3_u32 v7, v10, v11, v3
	s_waitcnt lgkmcnt(0)
	v_mov_b32_e32 v3, s1
	v_add_co_u32_e32 v5, vcc, s0, v1
	v_addc_co_u32_e32 v6, vcc, v3, v2, vcc
	v_lshlrev_b64 v[1:2], 1, v[7:8]
	s_load_dwordx16 s[8:23], s[4:5], 0x90
	v_mov_b32_e32 v3, s3
	v_add_co_u32_e32 v7, vcc, s2, v1
	v_addc_co_u32_e32 v8, vcc, v3, v2, vcc
	s_cmp_lg_u64 s[0:1], 0
	v_mul_lo_u32 v2, s39, v0
	s_cselect_b64 s[0:1], -1, 0
	s_mul_i32 s6, s6, s27
	v_cndmask_b32_e64 v1, 0, 1, s[0:1]
	s_mov_b64 s[4:5], 0
	s_mul_i32 s7, s6, s39
	s_sub_i32 s25, 0, s25
	s_waitcnt lgkmcnt(0)
	v_mov_b32_e32 v9, s9
	v_mov_b32_e32 v10, s11
	;; [unrolled: 1-line block ×4, first 2 shown]
	v_cmp_ne_u32_e64 s[0:1], 1, v1
	v_mov_b32_e32 v13, s17
	v_mov_b32_e32 v14, s19
	;; [unrolled: 1-line block ×4, first 2 shown]
	s_branch .LBB149_4
.LBB149_3:                              ;   in Loop: Header=BB149_4 Depth=1
	v_mul_hi_u32 v1, s30, v0
	v_add_u32_e32 v2, s7, v2
	v_add_u32_e32 v1, v0, v1
	v_lshrrev_b32_e32 v1, s31, v1
	v_mad_u64_u32 v[17:18], s[2:3], s25, v1, v[0:1]
	v_mul_lo_u32 v1, v17, s43
	v_add_co_u32_e32 v17, vcc, v1, v4
	v_addc_co_u32_e64 v18, s[2:3], 0, 0, vcc
	v_lshlrev_b64 v[17:18], 2, v[17:18]
	v_ashrrev_i32_e32 v1, 31, v0
	v_add_co_u32_e32 v19, vcc, s8, v17
	v_addc_co_u32_e32 v20, vcc, v9, v18, vcc
	v_add_co_u32_e32 v21, vcc, s10, v17
	v_addc_co_u32_e32 v22, vcc, v10, v18, vcc
	;; [unrolled: 2-line block ×8, first 2 shown]
	global_load_dword v19, v[19:20], off
	s_nop 0
	global_load_dword v20, v[21:22], off
	s_nop 0
	global_load_dword v21, v[23:24], off
	global_load_dword v22, v[25:26], off
                                        ; kill: killed $vgpr23 killed $vgpr24
                                        ; kill: killed $vgpr25 killed $vgpr26
	s_nop 0
	global_load_dword v23, v[27:28], off
	global_load_dword v24, v[29:30], off
	global_load_dword v25, v[31:32], off
	global_load_dword v26, v[17:18], off
	v_lshlrev_b64 v[17:18], 1, v[0:1]
	v_add_u32_e32 v0, s6, v0
	v_cmp_le_i32_e32 vcc, s24, v0
	v_add_co_u32_e64 v17, s[2:3], v7, v17
	v_addc_co_u32_e64 v18, s[2:3], v8, v18, s[2:3]
	s_or_b64 s[4:5], vcc, s[4:5]
	s_waitcnt vmcnt(7)
	v_mul_f32_e32 v1, v3, v19
	s_waitcnt vmcnt(6)
	v_mul_f32_e32 v1, v1, v20
	;; [unrolled: 2-line block ×7, first 2 shown]
	s_waitcnt vmcnt(0)
	v_fma_mixlo_f16 v1, v1, v26, 0
	global_store_short v[17:18], v1, off
	s_andn2_b64 exec, exec, s[4:5]
	s_cbranch_execz .LBB149_6
.LBB149_4:                              ; =>This Inner Loop Header: Depth=1
	s_and_b64 vcc, exec, s[0:1]
	v_mov_b32_e32 v3, 0
	s_cbranch_vccnz .LBB149_3
; %bb.5:                                ;   in Loop: Header=BB149_4 Depth=1
	v_ashrrev_i32_e32 v3, 31, v2
	v_lshlrev_b64 v[17:18], 1, v[2:3]
	v_add_co_u32_e32 v17, vcc, v5, v17
	v_addc_co_u32_e32 v18, vcc, v6, v18, vcc
	global_load_ushort v1, v[17:18], off
	s_waitcnt vmcnt(0)
	v_cvt_f32_f16_e32 v3, v1
	s_branch .LBB149_3
.LBB149_6:
	s_endpgm
	.section	.rodata,"a",@progbits
	.p2align	6, 0x0
	.amdhsa_kernel _ZL11k_bin_bcastIXadL_ZL6op_mulffEE6__halffS0_JPKfS2_S2_S2_S2_S2_S2_S2_EEvPKT0_PKT1_PT2_iii15HIP_vector_typeIjLj3EESC_SC_SC_SC_iiiiiiiiiiiDpT3_
		.amdhsa_group_segment_fixed_size 0
		.amdhsa_private_segment_fixed_size 0
		.amdhsa_kernarg_size 464
		.amdhsa_user_sgpr_count 6
		.amdhsa_user_sgpr_private_segment_buffer 1
		.amdhsa_user_sgpr_dispatch_ptr 0
		.amdhsa_user_sgpr_queue_ptr 0
		.amdhsa_user_sgpr_kernarg_segment_ptr 1
		.amdhsa_user_sgpr_dispatch_id 0
		.amdhsa_user_sgpr_flat_scratch_init 0
		.amdhsa_user_sgpr_private_segment_size 0
		.amdhsa_uses_dynamic_stack 0
		.amdhsa_system_sgpr_private_segment_wavefront_offset 0
		.amdhsa_system_sgpr_workgroup_id_x 1
		.amdhsa_system_sgpr_workgroup_id_y 1
		.amdhsa_system_sgpr_workgroup_id_z 1
		.amdhsa_system_sgpr_workgroup_info 0
		.amdhsa_system_vgpr_workitem_id 2
		.amdhsa_next_free_vgpr 33
		.amdhsa_next_free_sgpr 44
		.amdhsa_reserve_vcc 1
		.amdhsa_reserve_flat_scratch 0
		.amdhsa_float_round_mode_32 0
		.amdhsa_float_round_mode_16_64 0
		.amdhsa_float_denorm_mode_32 3
		.amdhsa_float_denorm_mode_16_64 3
		.amdhsa_dx10_clamp 1
		.amdhsa_ieee_mode 1
		.amdhsa_fp16_overflow 0
		.amdhsa_exception_fp_ieee_invalid_op 0
		.amdhsa_exception_fp_denorm_src 0
		.amdhsa_exception_fp_ieee_div_zero 0
		.amdhsa_exception_fp_ieee_overflow 0
		.amdhsa_exception_fp_ieee_underflow 0
		.amdhsa_exception_fp_ieee_inexact 0
		.amdhsa_exception_int_div_zero 0
	.end_amdhsa_kernel
	.section	.text._ZL11k_bin_bcastIXadL_ZL6op_mulffEE6__halffS0_JPKfS2_S2_S2_S2_S2_S2_S2_EEvPKT0_PKT1_PT2_iii15HIP_vector_typeIjLj3EESC_SC_SC_SC_iiiiiiiiiiiDpT3_,"axG",@progbits,_ZL11k_bin_bcastIXadL_ZL6op_mulffEE6__halffS0_JPKfS2_S2_S2_S2_S2_S2_S2_EEvPKT0_PKT1_PT2_iii15HIP_vector_typeIjLj3EESC_SC_SC_SC_iiiiiiiiiiiDpT3_,comdat
.Lfunc_end149:
	.size	_ZL11k_bin_bcastIXadL_ZL6op_mulffEE6__halffS0_JPKfS2_S2_S2_S2_S2_S2_S2_EEvPKT0_PKT1_PT2_iii15HIP_vector_typeIjLj3EESC_SC_SC_SC_iiiiiiiiiiiDpT3_, .Lfunc_end149-_ZL11k_bin_bcastIXadL_ZL6op_mulffEE6__halffS0_JPKfS2_S2_S2_S2_S2_S2_S2_EEvPKT0_PKT1_PT2_iii15HIP_vector_typeIjLj3EESC_SC_SC_SC_iiiiiiiiiiiDpT3_
                                        ; -- End function
	.set _ZL11k_bin_bcastIXadL_ZL6op_mulffEE6__halffS0_JPKfS2_S2_S2_S2_S2_S2_S2_EEvPKT0_PKT1_PT2_iii15HIP_vector_typeIjLj3EESC_SC_SC_SC_iiiiiiiiiiiDpT3_.num_vgpr, 33
	.set _ZL11k_bin_bcastIXadL_ZL6op_mulffEE6__halffS0_JPKfS2_S2_S2_S2_S2_S2_S2_EEvPKT0_PKT1_PT2_iii15HIP_vector_typeIjLj3EESC_SC_SC_SC_iiiiiiiiiiiDpT3_.num_agpr, 0
	.set _ZL11k_bin_bcastIXadL_ZL6op_mulffEE6__halffS0_JPKfS2_S2_S2_S2_S2_S2_S2_EEvPKT0_PKT1_PT2_iii15HIP_vector_typeIjLj3EESC_SC_SC_SC_iiiiiiiiiiiDpT3_.numbered_sgpr, 44
	.set _ZL11k_bin_bcastIXadL_ZL6op_mulffEE6__halffS0_JPKfS2_S2_S2_S2_S2_S2_S2_EEvPKT0_PKT1_PT2_iii15HIP_vector_typeIjLj3EESC_SC_SC_SC_iiiiiiiiiiiDpT3_.num_named_barrier, 0
	.set _ZL11k_bin_bcastIXadL_ZL6op_mulffEE6__halffS0_JPKfS2_S2_S2_S2_S2_S2_S2_EEvPKT0_PKT1_PT2_iii15HIP_vector_typeIjLj3EESC_SC_SC_SC_iiiiiiiiiiiDpT3_.private_seg_size, 0
	.set _ZL11k_bin_bcastIXadL_ZL6op_mulffEE6__halffS0_JPKfS2_S2_S2_S2_S2_S2_S2_EEvPKT0_PKT1_PT2_iii15HIP_vector_typeIjLj3EESC_SC_SC_SC_iiiiiiiiiiiDpT3_.uses_vcc, 1
	.set _ZL11k_bin_bcastIXadL_ZL6op_mulffEE6__halffS0_JPKfS2_S2_S2_S2_S2_S2_S2_EEvPKT0_PKT1_PT2_iii15HIP_vector_typeIjLj3EESC_SC_SC_SC_iiiiiiiiiiiDpT3_.uses_flat_scratch, 0
	.set _ZL11k_bin_bcastIXadL_ZL6op_mulffEE6__halffS0_JPKfS2_S2_S2_S2_S2_S2_S2_EEvPKT0_PKT1_PT2_iii15HIP_vector_typeIjLj3EESC_SC_SC_SC_iiiiiiiiiiiDpT3_.has_dyn_sized_stack, 0
	.set _ZL11k_bin_bcastIXadL_ZL6op_mulffEE6__halffS0_JPKfS2_S2_S2_S2_S2_S2_S2_EEvPKT0_PKT1_PT2_iii15HIP_vector_typeIjLj3EESC_SC_SC_SC_iiiiiiiiiiiDpT3_.has_recursion, 0
	.set _ZL11k_bin_bcastIXadL_ZL6op_mulffEE6__halffS0_JPKfS2_S2_S2_S2_S2_S2_S2_EEvPKT0_PKT1_PT2_iii15HIP_vector_typeIjLj3EESC_SC_SC_SC_iiiiiiiiiiiDpT3_.has_indirect_call, 0
	.section	.AMDGPU.csdata,"",@progbits
; Kernel info:
; codeLenInByte = 928
; TotalNumSgprs: 48
; NumVgprs: 33
; ScratchSize: 0
; MemoryBound: 0
; FloatMode: 240
; IeeeMode: 1
; LDSByteSize: 0 bytes/workgroup (compile time only)
; SGPRBlocks: 5
; VGPRBlocks: 8
; NumSGPRsForWavesPerEU: 48
; NumVGPRsForWavesPerEU: 33
; Occupancy: 7
; WaveLimiterHint : 1
; COMPUTE_PGM_RSRC2:SCRATCH_EN: 0
; COMPUTE_PGM_RSRC2:USER_SGPR: 6
; COMPUTE_PGM_RSRC2:TRAP_HANDLER: 0
; COMPUTE_PGM_RSRC2:TGID_X_EN: 1
; COMPUTE_PGM_RSRC2:TGID_Y_EN: 1
; COMPUTE_PGM_RSRC2:TGID_Z_EN: 1
; COMPUTE_PGM_RSRC2:TIDIG_COMP_CNT: 2
	.section	.text._ZL19k_bin_bcast_unravelIXadL_ZL6op_mulffEE6__halfffJPKfS2_S2_S2_S2_S2_S2_S2_EEvPKT0_PKT1_PT2_15HIP_vector_typeIjLj3EESC_SC_jSC_SC_SC_SC_SC_SC_iiiiiiiiiiiDpT3_,"axG",@progbits,_ZL19k_bin_bcast_unravelIXadL_ZL6op_mulffEE6__halfffJPKfS2_S2_S2_S2_S2_S2_S2_EEvPKT0_PKT1_PT2_15HIP_vector_typeIjLj3EESC_SC_jSC_SC_SC_SC_SC_SC_iiiiiiiiiiiDpT3_,comdat
	.globl	_ZL19k_bin_bcast_unravelIXadL_ZL6op_mulffEE6__halfffJPKfS2_S2_S2_S2_S2_S2_S2_EEvPKT0_PKT1_PT2_15HIP_vector_typeIjLj3EESC_SC_jSC_SC_SC_SC_SC_SC_iiiiiiiiiiiDpT3_ ; -- Begin function _ZL19k_bin_bcast_unravelIXadL_ZL6op_mulffEE6__halfffJPKfS2_S2_S2_S2_S2_S2_S2_EEvPKT0_PKT1_PT2_15HIP_vector_typeIjLj3EESC_SC_jSC_SC_SC_SC_SC_SC_iiiiiiiiiiiDpT3_
	.p2align	8
	.type	_ZL19k_bin_bcast_unravelIXadL_ZL6op_mulffEE6__halfffJPKfS2_S2_S2_S2_S2_S2_S2_EEvPKT0_PKT1_PT2_15HIP_vector_typeIjLj3EESC_SC_jSC_SC_SC_SC_SC_SC_iiiiiiiiiiiDpT3_,@function
_ZL19k_bin_bcast_unravelIXadL_ZL6op_mulffEE6__halfffJPKfS2_S2_S2_S2_S2_S2_S2_EEvPKT0_PKT1_PT2_15HIP_vector_typeIjLj3EESC_SC_jSC_SC_SC_SC_SC_SC_iiiiiiiiiiiDpT3_: ; @_ZL19k_bin_bcast_unravelIXadL_ZL6op_mulffEE6__halfffJPKfS2_S2_S2_S2_S2_S2_S2_EEvPKT0_PKT1_PT2_15HIP_vector_typeIjLj3EESC_SC_jSC_SC_SC_SC_SC_SC_iiiiiiiiiiiDpT3_
; %bb.0:
	s_load_dword s0, s[4:5], 0x104
	s_load_dwordx8 s[8:15], s[4:5], 0x38
	s_waitcnt lgkmcnt(0)
	s_and_b32 s0, s0, 0xffff
	s_mul_i32 s6, s6, s0
	v_add_u32_e32 v0, s6, v0
	v_mul_hi_u32 v1, v0, s10
	s_load_dwordx4 s[0:3], s[4:5], 0x18
	s_waitcnt lgkmcnt(0)
	s_load_dword s3, s[4:5], 0x2c
	v_add_u32_e32 v1, v0, v1
	v_lshrrev_b32_e32 v1, s11, v1
	v_mul_lo_u32 v2, v1, s12
	v_sub_u32_e32 v0, v0, v2
	v_mul_hi_u32 v2, v0, s13
	v_add_u32_e32 v2, v0, v2
	v_lshrrev_b32_e32 v3, s14, v2
	v_mul_lo_u32 v2, v3, s15
	v_cmp_gt_u32_e32 vcc, s8, v3
	v_sub_u32_e32 v0, v0, v2
	v_mul_hi_u32 v2, v0, s0
	v_add_u32_e32 v2, v0, v2
	v_lshrrev_b32_e32 v4, s1, v2
	v_mul_lo_u32 v2, v4, s2
	s_waitcnt lgkmcnt(0)
	v_cmp_gt_u32_e64 s[0:1], s3, v4
	v_sub_u32_e32 v0, v0, v2
	v_cmp_gt_u32_e64 s[2:3], s2, v0
	s_and_b64 s[0:1], s[2:3], s[0:1]
	s_and_b64 s[0:1], s[0:1], vcc
	v_cmp_gt_u32_e32 vcc, s9, v1
	s_and_b64 s[0:1], vcc, s[0:1]
	s_and_saveexec_b64 s[2:3], s[0:1]
	s_cbranch_execz .LBB150_4
; %bb.1:
	s_load_dwordx2 s[6:7], s[4:5], 0x0
	s_load_dwordx4 s[0:3], s[4:5], 0xa8
	s_load_dwordx8 s[24:31], s[4:5], 0x88
	s_load_dwordx4 s[16:19], s[4:5], 0x78
	s_load_dwordx8 s[8:15], s[4:5], 0x58
	v_mov_b32_e32 v2, 0
	s_waitcnt lgkmcnt(0)
	s_cmp_eq_u64 s[6:7], 0
	v_mov_b32_e32 v5, 0
	s_cbranch_scc1 .LBB150_3
; %bb.2:
	v_mul_lo_u32 v5, v1, s30
	v_mul_lo_u32 v7, v3, s29
	;; [unrolled: 1-line block ×3, first 2 shown]
	v_mov_b32_e32 v6, 0
	v_mov_b32_e32 v9, s7
	v_add3_u32 v5, v7, v5, v8
	v_lshlrev_b64 v[7:8], 1, v[5:6]
	v_mul_lo_u32 v5, v0, s27
	v_add_co_u32_e32 v7, vcc, s6, v7
	v_addc_co_u32_e32 v8, vcc, v9, v8, vcc
	v_lshlrev_b64 v[5:6], 1, v[5:6]
	v_add_co_u32_e32 v5, vcc, v7, v5
	v_addc_co_u32_e32 v6, vcc, v8, v6, vcc
	global_load_ushort v5, v[5:6], off
	s_waitcnt vmcnt(0)
	v_cvt_f32_f16_e32 v5, v5
.LBB150_3:
	v_mul_hi_u32 v6, s11, v4
	v_mul_hi_u32 v7, s14, v3
	;; [unrolled: 1-line block ×4, first 2 shown]
	v_add_u32_e32 v6, v4, v6
	v_add_u32_e32 v7, v3, v7
	;; [unrolled: 1-line block ×3, first 2 shown]
	v_lshrrev_b32_e32 v6, s12, v6
	v_lshrrev_b32_e32 v7, s15, v7
	;; [unrolled: 1-line block ×3, first 2 shown]
	v_add_u32_e32 v9, v0, v9
	v_mul_lo_u32 v6, v6, s13
	v_mul_lo_u32 v7, v7, s16
	;; [unrolled: 1-line block ×3, first 2 shown]
	v_lshrrev_b32_e32 v9, s9, v9
	v_mul_lo_u32 v9, v9, s10
	v_sub_u32_e32 v6, v4, v6
	v_sub_u32_e32 v7, v3, v7
	;; [unrolled: 1-line block ×3, first 2 shown]
	v_mul_lo_u32 v8, v8, s2
	v_mul_lo_u32 v7, v7, s1
	;; [unrolled: 1-line block ×3, first 2 shown]
	v_sub_u32_e32 v9, v0, v9
	v_mul_lo_u32 v9, v9, s31
	s_load_dwordx16 s[8:23], s[4:5], 0xb8
	v_add3_u32 v6, v7, v8, v6
	v_ashrrev_i32_e32 v7, 31, v6
	v_ashrrev_i32_e32 v8, 31, v9
	v_add_co_u32_e32 v6, vcc, v9, v6
	v_addc_co_u32_e32 v7, vcc, v8, v7, vcc
	v_lshlrev_b64 v[6:7], 2, v[6:7]
	s_waitcnt lgkmcnt(0)
	v_mov_b32_e32 v9, s9
	v_add_co_u32_e32 v8, vcc, s8, v6
	v_addc_co_u32_e32 v9, vcc, v9, v7, vcc
	global_load_dword v10, v[8:9], off
	v_mov_b32_e32 v9, s11
	v_add_co_u32_e32 v8, vcc, s10, v6
	v_addc_co_u32_e32 v9, vcc, v9, v7, vcc
	global_load_dword v11, v[8:9], off
	;; [unrolled: 4-line block ×8, first 2 shown]
	v_mul_lo_u32 v7, v1, s26
	v_mul_lo_u32 v9, v3, s25
	;; [unrolled: 1-line block ×3, first 2 shown]
	s_load_dwordx2 s[0:1], s[4:5], 0x10
	v_mov_b32_e32 v1, v2
	v_lshlrev_b64 v[3:4], 2, v[0:1]
	v_add3_u32 v1, v9, v7, v16
	v_lshlrev_b64 v[0:1], 2, v[1:2]
	s_waitcnt lgkmcnt(0)
	v_mov_b32_e32 v2, s1
	v_add_co_u32_e32 v0, vcc, s0, v0
	v_addc_co_u32_e32 v1, vcc, v2, v1, vcc
	v_add_co_u32_e32 v0, vcc, v0, v3
	v_addc_co_u32_e32 v1, vcc, v1, v4, vcc
	s_waitcnt vmcnt(7)
	v_mul_f32_e32 v2, v5, v10
	s_waitcnt vmcnt(6)
	v_mul_f32_e32 v2, v2, v11
	;; [unrolled: 2-line block ×8, first 2 shown]
	global_store_dword v[0:1], v2, off
.LBB150_4:
	s_endpgm
	.section	.rodata,"a",@progbits
	.p2align	6, 0x0
	.amdhsa_kernel _ZL19k_bin_bcast_unravelIXadL_ZL6op_mulffEE6__halfffJPKfS2_S2_S2_S2_S2_S2_S2_EEvPKT0_PKT1_PT2_15HIP_vector_typeIjLj3EESC_SC_jSC_SC_SC_SC_SC_SC_iiiiiiiiiiiDpT3_
		.amdhsa_group_segment_fixed_size 0
		.amdhsa_private_segment_fixed_size 0
		.amdhsa_kernarg_size 504
		.amdhsa_user_sgpr_count 6
		.amdhsa_user_sgpr_private_segment_buffer 1
		.amdhsa_user_sgpr_dispatch_ptr 0
		.amdhsa_user_sgpr_queue_ptr 0
		.amdhsa_user_sgpr_kernarg_segment_ptr 1
		.amdhsa_user_sgpr_dispatch_id 0
		.amdhsa_user_sgpr_flat_scratch_init 0
		.amdhsa_user_sgpr_private_segment_size 0
		.amdhsa_uses_dynamic_stack 0
		.amdhsa_system_sgpr_private_segment_wavefront_offset 0
		.amdhsa_system_sgpr_workgroup_id_x 1
		.amdhsa_system_sgpr_workgroup_id_y 0
		.amdhsa_system_sgpr_workgroup_id_z 0
		.amdhsa_system_sgpr_workgroup_info 0
		.amdhsa_system_vgpr_workitem_id 0
		.amdhsa_next_free_vgpr 17
		.amdhsa_next_free_sgpr 32
		.amdhsa_reserve_vcc 1
		.amdhsa_reserve_flat_scratch 0
		.amdhsa_float_round_mode_32 0
		.amdhsa_float_round_mode_16_64 0
		.amdhsa_float_denorm_mode_32 3
		.amdhsa_float_denorm_mode_16_64 3
		.amdhsa_dx10_clamp 1
		.amdhsa_ieee_mode 1
		.amdhsa_fp16_overflow 0
		.amdhsa_exception_fp_ieee_invalid_op 0
		.amdhsa_exception_fp_denorm_src 0
		.amdhsa_exception_fp_ieee_div_zero 0
		.amdhsa_exception_fp_ieee_overflow 0
		.amdhsa_exception_fp_ieee_underflow 0
		.amdhsa_exception_fp_ieee_inexact 0
		.amdhsa_exception_int_div_zero 0
	.end_amdhsa_kernel
	.section	.text._ZL19k_bin_bcast_unravelIXadL_ZL6op_mulffEE6__halfffJPKfS2_S2_S2_S2_S2_S2_S2_EEvPKT0_PKT1_PT2_15HIP_vector_typeIjLj3EESC_SC_jSC_SC_SC_SC_SC_SC_iiiiiiiiiiiDpT3_,"axG",@progbits,_ZL19k_bin_bcast_unravelIXadL_ZL6op_mulffEE6__halfffJPKfS2_S2_S2_S2_S2_S2_S2_EEvPKT0_PKT1_PT2_15HIP_vector_typeIjLj3EESC_SC_jSC_SC_SC_SC_SC_SC_iiiiiiiiiiiDpT3_,comdat
.Lfunc_end150:
	.size	_ZL19k_bin_bcast_unravelIXadL_ZL6op_mulffEE6__halfffJPKfS2_S2_S2_S2_S2_S2_S2_EEvPKT0_PKT1_PT2_15HIP_vector_typeIjLj3EESC_SC_jSC_SC_SC_SC_SC_SC_iiiiiiiiiiiDpT3_, .Lfunc_end150-_ZL19k_bin_bcast_unravelIXadL_ZL6op_mulffEE6__halfffJPKfS2_S2_S2_S2_S2_S2_S2_EEvPKT0_PKT1_PT2_15HIP_vector_typeIjLj3EESC_SC_jSC_SC_SC_SC_SC_SC_iiiiiiiiiiiDpT3_
                                        ; -- End function
	.set _ZL19k_bin_bcast_unravelIXadL_ZL6op_mulffEE6__halfffJPKfS2_S2_S2_S2_S2_S2_S2_EEvPKT0_PKT1_PT2_15HIP_vector_typeIjLj3EESC_SC_jSC_SC_SC_SC_SC_SC_iiiiiiiiiiiDpT3_.num_vgpr, 17
	.set _ZL19k_bin_bcast_unravelIXadL_ZL6op_mulffEE6__halfffJPKfS2_S2_S2_S2_S2_S2_S2_EEvPKT0_PKT1_PT2_15HIP_vector_typeIjLj3EESC_SC_jSC_SC_SC_SC_SC_SC_iiiiiiiiiiiDpT3_.num_agpr, 0
	.set _ZL19k_bin_bcast_unravelIXadL_ZL6op_mulffEE6__halfffJPKfS2_S2_S2_S2_S2_S2_S2_EEvPKT0_PKT1_PT2_15HIP_vector_typeIjLj3EESC_SC_jSC_SC_SC_SC_SC_SC_iiiiiiiiiiiDpT3_.numbered_sgpr, 32
	.set _ZL19k_bin_bcast_unravelIXadL_ZL6op_mulffEE6__halfffJPKfS2_S2_S2_S2_S2_S2_S2_EEvPKT0_PKT1_PT2_15HIP_vector_typeIjLj3EESC_SC_jSC_SC_SC_SC_SC_SC_iiiiiiiiiiiDpT3_.num_named_barrier, 0
	.set _ZL19k_bin_bcast_unravelIXadL_ZL6op_mulffEE6__halfffJPKfS2_S2_S2_S2_S2_S2_S2_EEvPKT0_PKT1_PT2_15HIP_vector_typeIjLj3EESC_SC_jSC_SC_SC_SC_SC_SC_iiiiiiiiiiiDpT3_.private_seg_size, 0
	.set _ZL19k_bin_bcast_unravelIXadL_ZL6op_mulffEE6__halfffJPKfS2_S2_S2_S2_S2_S2_S2_EEvPKT0_PKT1_PT2_15HIP_vector_typeIjLj3EESC_SC_jSC_SC_SC_SC_SC_SC_iiiiiiiiiiiDpT3_.uses_vcc, 1
	.set _ZL19k_bin_bcast_unravelIXadL_ZL6op_mulffEE6__halfffJPKfS2_S2_S2_S2_S2_S2_S2_EEvPKT0_PKT1_PT2_15HIP_vector_typeIjLj3EESC_SC_jSC_SC_SC_SC_SC_SC_iiiiiiiiiiiDpT3_.uses_flat_scratch, 0
	.set _ZL19k_bin_bcast_unravelIXadL_ZL6op_mulffEE6__halfffJPKfS2_S2_S2_S2_S2_S2_S2_EEvPKT0_PKT1_PT2_15HIP_vector_typeIjLj3EESC_SC_jSC_SC_SC_SC_SC_SC_iiiiiiiiiiiDpT3_.has_dyn_sized_stack, 0
	.set _ZL19k_bin_bcast_unravelIXadL_ZL6op_mulffEE6__halfffJPKfS2_S2_S2_S2_S2_S2_S2_EEvPKT0_PKT1_PT2_15HIP_vector_typeIjLj3EESC_SC_jSC_SC_SC_SC_SC_SC_iiiiiiiiiiiDpT3_.has_recursion, 0
	.set _ZL19k_bin_bcast_unravelIXadL_ZL6op_mulffEE6__halfffJPKfS2_S2_S2_S2_S2_S2_S2_EEvPKT0_PKT1_PT2_15HIP_vector_typeIjLj3EESC_SC_jSC_SC_SC_SC_SC_SC_iiiiiiiiiiiDpT3_.has_indirect_call, 0
	.section	.AMDGPU.csdata,"",@progbits
; Kernel info:
; codeLenInByte = 852
; TotalNumSgprs: 36
; NumVgprs: 17
; ScratchSize: 0
; MemoryBound: 0
; FloatMode: 240
; IeeeMode: 1
; LDSByteSize: 0 bytes/workgroup (compile time only)
; SGPRBlocks: 4
; VGPRBlocks: 4
; NumSGPRsForWavesPerEU: 36
; NumVGPRsForWavesPerEU: 17
; Occupancy: 10
; WaveLimiterHint : 1
; COMPUTE_PGM_RSRC2:SCRATCH_EN: 0
; COMPUTE_PGM_RSRC2:USER_SGPR: 6
; COMPUTE_PGM_RSRC2:TRAP_HANDLER: 0
; COMPUTE_PGM_RSRC2:TGID_X_EN: 1
; COMPUTE_PGM_RSRC2:TGID_Y_EN: 0
; COMPUTE_PGM_RSRC2:TGID_Z_EN: 0
; COMPUTE_PGM_RSRC2:TIDIG_COMP_CNT: 0
	.section	.text._ZL11k_bin_bcastIXadL_ZL6op_mulffEE6__halfffJPKfS2_S2_S2_S2_S2_S2_S2_EEvPKT0_PKT1_PT2_iii15HIP_vector_typeIjLj3EESC_SC_SC_SC_iiiiiiiiiiiDpT3_,"axG",@progbits,_ZL11k_bin_bcastIXadL_ZL6op_mulffEE6__halfffJPKfS2_S2_S2_S2_S2_S2_S2_EEvPKT0_PKT1_PT2_iii15HIP_vector_typeIjLj3EESC_SC_SC_SC_iiiiiiiiiiiDpT3_,comdat
	.globl	_ZL11k_bin_bcastIXadL_ZL6op_mulffEE6__halfffJPKfS2_S2_S2_S2_S2_S2_S2_EEvPKT0_PKT1_PT2_iii15HIP_vector_typeIjLj3EESC_SC_SC_SC_iiiiiiiiiiiDpT3_ ; -- Begin function _ZL11k_bin_bcastIXadL_ZL6op_mulffEE6__halfffJPKfS2_S2_S2_S2_S2_S2_S2_EEvPKT0_PKT1_PT2_iii15HIP_vector_typeIjLj3EESC_SC_SC_SC_iiiiiiiiiiiDpT3_
	.p2align	8
	.type	_ZL11k_bin_bcastIXadL_ZL6op_mulffEE6__halfffJPKfS2_S2_S2_S2_S2_S2_S2_EEvPKT0_PKT1_PT2_iii15HIP_vector_typeIjLj3EESC_SC_SC_SC_iiiiiiiiiiiDpT3_,@function
_ZL11k_bin_bcastIXadL_ZL6op_mulffEE6__halfffJPKfS2_S2_S2_S2_S2_S2_S2_EEvPKT0_PKT1_PT2_iii15HIP_vector_typeIjLj3EESC_SC_SC_SC_iiiiiiiiiiiDpT3_: ; @_ZL11k_bin_bcastIXadL_ZL6op_mulffEE6__halfffJPKfS2_S2_S2_S2_S2_S2_S2_EEvPKT0_PKT1_PT2_iii15HIP_vector_typeIjLj3EESC_SC_SC_SC_iiiiiiiiiiiDpT3_
; %bb.0:
	s_load_dwordx2 s[0:1], s[4:5], 0xdc
	s_load_dwordx8 s[24:31], s[4:5], 0x18
	s_add_u32 s2, s4, 0xd0
	s_addc_u32 s3, s5, 0
	s_waitcnt lgkmcnt(0)
	s_and_b32 s1, s1, 0xffff
	s_mul_i32 s8, s8, s1
	v_add_u32_e32 v3, s8, v2
	v_mul_hi_u32 v2, v3, s27
	s_lshr_b32 s1, s0, 16
	s_and_b32 s27, s0, 0xffff
	s_mul_i32 s6, s6, s27
	v_add_u32_e32 v2, v3, v2
	v_lshrrev_b32_e32 v2, s28, v2
	v_mul_lo_u32 v4, v2, s29
	s_mul_i32 s7, s7, s1
	v_add_u32_e32 v0, s6, v0
	v_add_u32_e32 v1, s7, v1
	v_cmp_gt_u32_e32 vcc, s24, v0
	v_cmp_gt_u32_e64 s[0:1], s25, v1
	v_sub_u32_e32 v3, v3, v4
	s_and_b64 s[0:1], vcc, s[0:1]
	v_cmp_gt_u32_e32 vcc, s26, v2
	s_and_b64 s[0:1], s[0:1], vcc
	v_cmp_gt_u32_e32 vcc, s29, v3
	s_and_b64 s[0:1], s[0:1], vcc
	s_and_saveexec_b64 s[6:7], s[0:1]
	s_cbranch_execz .LBB151_6
; %bb.1:
	v_cmp_gt_i32_e32 vcc, s24, v0
	s_and_b64 exec, exec, vcc
	s_cbranch_execz .LBB151_6
; %bb.2:
	s_load_dwordx8 s[8:15], s[4:5], 0x3c
	s_load_dwordx8 s[36:43], s[4:5], 0x60
	s_load_dwordx4 s[16:19], s[4:5], 0x80
	s_load_dword s6, s[2:3], 0x0
	s_load_dword s0, s[4:5], 0x5c
	s_waitcnt lgkmcnt(0)
	v_mul_hi_u32 v4, s8, v1
	v_mul_hi_u32 v5, s11, v2
	;; [unrolled: 1-line block ×3, first 2 shown]
	v_mul_lo_u32 v7, v3, s42
	v_add_u32_e32 v4, v1, v4
	v_add_u32_e32 v5, v2, v5
	;; [unrolled: 1-line block ×3, first 2 shown]
	v_lshrrev_b32_e32 v4, s9, v4
	v_lshrrev_b32_e32 v5, s12, v5
	;; [unrolled: 1-line block ×3, first 2 shown]
	v_mul_lo_u32 v4, v4, s10
	v_mul_lo_u32 v5, v5, s13
	;; [unrolled: 1-line block ×5, first 2 shown]
	v_sub_u32_e32 v4, v1, v4
	v_sub_u32_e32 v5, v2, v5
	v_sub_u32_e32 v6, v3, v6
	s_load_dword s25, s[4:5], 0x38
	s_load_dwordx2 s[0:1], s[4:5], 0x0
	s_load_dwordx2 s[2:3], s[4:5], 0x10
	v_mul_lo_u32 v6, v6, s18
	v_mul_lo_u32 v5, v5, s17
	;; [unrolled: 1-line block ×6, first 2 shown]
	v_add3_u32 v1, v8, v9, v7
	v_mov_b32_e32 v2, 0
	v_mov_b32_e32 v8, v2
	v_lshlrev_b64 v[1:2], 1, v[1:2]
	v_add3_u32 v4, v5, v6, v4
	v_add3_u32 v7, v10, v11, v3
	s_waitcnt lgkmcnt(0)
	v_mov_b32_e32 v3, s1
	v_add_co_u32_e32 v5, vcc, s0, v1
	v_addc_co_u32_e32 v6, vcc, v3, v2, vcc
	v_lshlrev_b64 v[1:2], 2, v[7:8]
	s_load_dwordx16 s[8:23], s[4:5], 0x90
	v_mov_b32_e32 v3, s3
	v_add_co_u32_e32 v7, vcc, s2, v1
	v_addc_co_u32_e32 v8, vcc, v3, v2, vcc
	s_cmp_lg_u64 s[0:1], 0
	v_mul_lo_u32 v2, s39, v0
	s_cselect_b64 s[0:1], -1, 0
	s_mul_i32 s6, s6, s27
	v_cndmask_b32_e64 v1, 0, 1, s[0:1]
	s_mov_b64 s[4:5], 0
	s_mul_i32 s7, s6, s39
	s_sub_i32 s25, 0, s25
	s_waitcnt lgkmcnt(0)
	v_mov_b32_e32 v9, s9
	v_mov_b32_e32 v10, s11
	;; [unrolled: 1-line block ×4, first 2 shown]
	v_cmp_ne_u32_e64 s[0:1], 1, v1
	v_mov_b32_e32 v13, s17
	v_mov_b32_e32 v14, s19
	;; [unrolled: 1-line block ×4, first 2 shown]
	s_branch .LBB151_4
.LBB151_3:                              ;   in Loop: Header=BB151_4 Depth=1
	v_mul_hi_u32 v1, s30, v0
	v_add_u32_e32 v2, s7, v2
	v_add_u32_e32 v1, v0, v1
	v_lshrrev_b32_e32 v1, s31, v1
	v_mad_u64_u32 v[17:18], s[2:3], s25, v1, v[0:1]
	v_mul_lo_u32 v1, v17, s43
	v_add_co_u32_e32 v17, vcc, v1, v4
	v_addc_co_u32_e64 v18, s[2:3], 0, 0, vcc
	v_lshlrev_b64 v[17:18], 2, v[17:18]
	v_ashrrev_i32_e32 v1, 31, v0
	v_add_co_u32_e32 v19, vcc, s8, v17
	v_addc_co_u32_e32 v20, vcc, v9, v18, vcc
	v_add_co_u32_e32 v21, vcc, s10, v17
	v_addc_co_u32_e32 v22, vcc, v10, v18, vcc
	;; [unrolled: 2-line block ×8, first 2 shown]
	global_load_dword v19, v[19:20], off
	s_nop 0
	global_load_dword v20, v[21:22], off
	s_nop 0
	global_load_dword v21, v[23:24], off
	global_load_dword v22, v[25:26], off
                                        ; kill: killed $vgpr23 killed $vgpr24
                                        ; kill: killed $vgpr25 killed $vgpr26
	s_nop 0
	global_load_dword v23, v[27:28], off
	global_load_dword v24, v[29:30], off
	;; [unrolled: 1-line block ×4, first 2 shown]
	v_lshlrev_b64 v[17:18], 2, v[0:1]
	v_add_u32_e32 v0, s6, v0
	v_cmp_le_i32_e32 vcc, s24, v0
	v_add_co_u32_e64 v17, s[2:3], v7, v17
	v_addc_co_u32_e64 v18, s[2:3], v8, v18, s[2:3]
	s_or_b64 s[4:5], vcc, s[4:5]
	s_waitcnt vmcnt(7)
	v_mul_f32_e32 v1, v3, v19
	s_waitcnt vmcnt(6)
	v_mul_f32_e32 v1, v1, v20
	;; [unrolled: 2-line block ×8, first 2 shown]
	global_store_dword v[17:18], v1, off
	s_andn2_b64 exec, exec, s[4:5]
	s_cbranch_execz .LBB151_6
.LBB151_4:                              ; =>This Inner Loop Header: Depth=1
	s_and_b64 vcc, exec, s[0:1]
	v_mov_b32_e32 v3, 0
	s_cbranch_vccnz .LBB151_3
; %bb.5:                                ;   in Loop: Header=BB151_4 Depth=1
	v_ashrrev_i32_e32 v3, 31, v2
	v_lshlrev_b64 v[17:18], 1, v[2:3]
	v_add_co_u32_e32 v17, vcc, v5, v17
	v_addc_co_u32_e32 v18, vcc, v6, v18, vcc
	global_load_ushort v1, v[17:18], off
	s_waitcnt vmcnt(0)
	v_cvt_f32_f16_e32 v3, v1
	s_branch .LBB151_3
.LBB151_6:
	s_endpgm
	.section	.rodata,"a",@progbits
	.p2align	6, 0x0
	.amdhsa_kernel _ZL11k_bin_bcastIXadL_ZL6op_mulffEE6__halfffJPKfS2_S2_S2_S2_S2_S2_S2_EEvPKT0_PKT1_PT2_iii15HIP_vector_typeIjLj3EESC_SC_SC_SC_iiiiiiiiiiiDpT3_
		.amdhsa_group_segment_fixed_size 0
		.amdhsa_private_segment_fixed_size 0
		.amdhsa_kernarg_size 464
		.amdhsa_user_sgpr_count 6
		.amdhsa_user_sgpr_private_segment_buffer 1
		.amdhsa_user_sgpr_dispatch_ptr 0
		.amdhsa_user_sgpr_queue_ptr 0
		.amdhsa_user_sgpr_kernarg_segment_ptr 1
		.amdhsa_user_sgpr_dispatch_id 0
		.amdhsa_user_sgpr_flat_scratch_init 0
		.amdhsa_user_sgpr_private_segment_size 0
		.amdhsa_uses_dynamic_stack 0
		.amdhsa_system_sgpr_private_segment_wavefront_offset 0
		.amdhsa_system_sgpr_workgroup_id_x 1
		.amdhsa_system_sgpr_workgroup_id_y 1
		.amdhsa_system_sgpr_workgroup_id_z 1
		.amdhsa_system_sgpr_workgroup_info 0
		.amdhsa_system_vgpr_workitem_id 2
		.amdhsa_next_free_vgpr 33
		.amdhsa_next_free_sgpr 44
		.amdhsa_reserve_vcc 1
		.amdhsa_reserve_flat_scratch 0
		.amdhsa_float_round_mode_32 0
		.amdhsa_float_round_mode_16_64 0
		.amdhsa_float_denorm_mode_32 3
		.amdhsa_float_denorm_mode_16_64 3
		.amdhsa_dx10_clamp 1
		.amdhsa_ieee_mode 1
		.amdhsa_fp16_overflow 0
		.amdhsa_exception_fp_ieee_invalid_op 0
		.amdhsa_exception_fp_denorm_src 0
		.amdhsa_exception_fp_ieee_div_zero 0
		.amdhsa_exception_fp_ieee_overflow 0
		.amdhsa_exception_fp_ieee_underflow 0
		.amdhsa_exception_fp_ieee_inexact 0
		.amdhsa_exception_int_div_zero 0
	.end_amdhsa_kernel
	.section	.text._ZL11k_bin_bcastIXadL_ZL6op_mulffEE6__halfffJPKfS2_S2_S2_S2_S2_S2_S2_EEvPKT0_PKT1_PT2_iii15HIP_vector_typeIjLj3EESC_SC_SC_SC_iiiiiiiiiiiDpT3_,"axG",@progbits,_ZL11k_bin_bcastIXadL_ZL6op_mulffEE6__halfffJPKfS2_S2_S2_S2_S2_S2_S2_EEvPKT0_PKT1_PT2_iii15HIP_vector_typeIjLj3EESC_SC_SC_SC_iiiiiiiiiiiDpT3_,comdat
.Lfunc_end151:
	.size	_ZL11k_bin_bcastIXadL_ZL6op_mulffEE6__halfffJPKfS2_S2_S2_S2_S2_S2_S2_EEvPKT0_PKT1_PT2_iii15HIP_vector_typeIjLj3EESC_SC_SC_SC_iiiiiiiiiiiDpT3_, .Lfunc_end151-_ZL11k_bin_bcastIXadL_ZL6op_mulffEE6__halfffJPKfS2_S2_S2_S2_S2_S2_S2_EEvPKT0_PKT1_PT2_iii15HIP_vector_typeIjLj3EESC_SC_SC_SC_iiiiiiiiiiiDpT3_
                                        ; -- End function
	.set _ZL11k_bin_bcastIXadL_ZL6op_mulffEE6__halfffJPKfS2_S2_S2_S2_S2_S2_S2_EEvPKT0_PKT1_PT2_iii15HIP_vector_typeIjLj3EESC_SC_SC_SC_iiiiiiiiiiiDpT3_.num_vgpr, 33
	.set _ZL11k_bin_bcastIXadL_ZL6op_mulffEE6__halfffJPKfS2_S2_S2_S2_S2_S2_S2_EEvPKT0_PKT1_PT2_iii15HIP_vector_typeIjLj3EESC_SC_SC_SC_iiiiiiiiiiiDpT3_.num_agpr, 0
	.set _ZL11k_bin_bcastIXadL_ZL6op_mulffEE6__halfffJPKfS2_S2_S2_S2_S2_S2_S2_EEvPKT0_PKT1_PT2_iii15HIP_vector_typeIjLj3EESC_SC_SC_SC_iiiiiiiiiiiDpT3_.numbered_sgpr, 44
	.set _ZL11k_bin_bcastIXadL_ZL6op_mulffEE6__halfffJPKfS2_S2_S2_S2_S2_S2_S2_EEvPKT0_PKT1_PT2_iii15HIP_vector_typeIjLj3EESC_SC_SC_SC_iiiiiiiiiiiDpT3_.num_named_barrier, 0
	.set _ZL11k_bin_bcastIXadL_ZL6op_mulffEE6__halfffJPKfS2_S2_S2_S2_S2_S2_S2_EEvPKT0_PKT1_PT2_iii15HIP_vector_typeIjLj3EESC_SC_SC_SC_iiiiiiiiiiiDpT3_.private_seg_size, 0
	.set _ZL11k_bin_bcastIXadL_ZL6op_mulffEE6__halfffJPKfS2_S2_S2_S2_S2_S2_S2_EEvPKT0_PKT1_PT2_iii15HIP_vector_typeIjLj3EESC_SC_SC_SC_iiiiiiiiiiiDpT3_.uses_vcc, 1
	.set _ZL11k_bin_bcastIXadL_ZL6op_mulffEE6__halfffJPKfS2_S2_S2_S2_S2_S2_S2_EEvPKT0_PKT1_PT2_iii15HIP_vector_typeIjLj3EESC_SC_SC_SC_iiiiiiiiiiiDpT3_.uses_flat_scratch, 0
	.set _ZL11k_bin_bcastIXadL_ZL6op_mulffEE6__halfffJPKfS2_S2_S2_S2_S2_S2_S2_EEvPKT0_PKT1_PT2_iii15HIP_vector_typeIjLj3EESC_SC_SC_SC_iiiiiiiiiiiDpT3_.has_dyn_sized_stack, 0
	.set _ZL11k_bin_bcastIXadL_ZL6op_mulffEE6__halfffJPKfS2_S2_S2_S2_S2_S2_S2_EEvPKT0_PKT1_PT2_iii15HIP_vector_typeIjLj3EESC_SC_SC_SC_iiiiiiiiiiiDpT3_.has_recursion, 0
	.set _ZL11k_bin_bcastIXadL_ZL6op_mulffEE6__halfffJPKfS2_S2_S2_S2_S2_S2_S2_EEvPKT0_PKT1_PT2_iii15HIP_vector_typeIjLj3EESC_SC_SC_SC_iiiiiiiiiiiDpT3_.has_indirect_call, 0
	.section	.AMDGPU.csdata,"",@progbits
; Kernel info:
; codeLenInByte = 924
; TotalNumSgprs: 48
; NumVgprs: 33
; ScratchSize: 0
; MemoryBound: 0
; FloatMode: 240
; IeeeMode: 1
; LDSByteSize: 0 bytes/workgroup (compile time only)
; SGPRBlocks: 5
; VGPRBlocks: 8
; NumSGPRsForWavesPerEU: 48
; NumVGPRsForWavesPerEU: 33
; Occupancy: 7
; WaveLimiterHint : 1
; COMPUTE_PGM_RSRC2:SCRATCH_EN: 0
; COMPUTE_PGM_RSRC2:USER_SGPR: 6
; COMPUTE_PGM_RSRC2:TRAP_HANDLER: 0
; COMPUTE_PGM_RSRC2:TGID_X_EN: 1
; COMPUTE_PGM_RSRC2:TGID_Y_EN: 1
; COMPUTE_PGM_RSRC2:TGID_Z_EN: 1
; COMPUTE_PGM_RSRC2:TIDIG_COMP_CNT: 2
	.section	.text._ZL13k_repeat_backIfEvPKT_PS0_llllmmmmllll,"axG",@progbits,_ZL13k_repeat_backIfEvPKT_PS0_llllmmmmllll,comdat
	.globl	_ZL13k_repeat_backIfEvPKT_PS0_llllmmmmllll ; -- Begin function _ZL13k_repeat_backIfEvPKT_PS0_llllmmmmllll
	.p2align	8
	.type	_ZL13k_repeat_backIfEvPKT_PS0_llllmmmmllll,@function
_ZL13k_repeat_backIfEvPKT_PS0_llllmmmmllll: ; @_ZL13k_repeat_backIfEvPKT_PS0_llllmmmmllll
; %bb.0:
	s_load_dwordx2 s[2:3], s[4:5], 0x7c
	s_load_dwordx8 s[24:31], s[4:5], 0x50
	v_mov_b32_e32 v4, v1
	v_mov_b32_e32 v3, 0
	;; [unrolled: 1-line block ×3, first 2 shown]
	s_waitcnt lgkmcnt(0)
	s_and_b32 s0, s3, 0xffff
	v_mad_u64_u32 v[6:7], s[0:1], s0, v1, v[2:3]
	v_mov_b32_e32 v1, v3
	v_or_b32_e32 v2, s29, v7
	v_cmp_ne_u64_e32 vcc, 0, v[1:2]
                                        ; implicit-def: $vgpr2_vgpr3
	s_and_saveexec_b64 s[0:1], vcc
	s_xor_b64 s[8:9], exec, s[0:1]
	s_cbranch_execz .LBB152_2
; %bb.1:
	s_ashr_i32 s10, s29, 31
	s_add_u32 s0, s28, s10
	s_mov_b32 s11, s10
	s_addc_u32 s1, s29, s10
	s_xor_b64 s[12:13], s[0:1], s[10:11]
	v_cvt_f32_u32_e32 v1, s12
	v_cvt_f32_u32_e32 v2, s13
	s_sub_u32 s3, 0, s12
	s_subb_u32 s11, 0, s13
	v_ashrrev_i32_e32 v3, 31, v7
	v_madmk_f32 v1, v2, 0x4f800000, v1
	v_rcp_f32_e32 v1, v1
	v_mul_f32_e32 v1, 0x5f7ffffc, v1
	v_mul_f32_e32 v2, 0x2f800000, v1
	v_trunc_f32_e32 v2, v2
	v_madmk_f32 v1, v2, 0xcf800000, v1
	v_cvt_u32_f32_e32 v2, v2
	v_cvt_u32_f32_e32 v1, v1
	v_readfirstlane_b32 s14, v2
	v_readfirstlane_b32 s0, v1
	s_mul_i32 s1, s3, s14
	s_mul_hi_u32 s16, s3, s0
	s_mul_i32 s15, s11, s0
	s_add_i32 s1, s16, s1
	s_add_i32 s1, s1, s15
	s_mul_i32 s17, s3, s0
	s_mul_i32 s16, s0, s1
	s_mul_hi_u32 s18, s0, s17
	s_mul_hi_u32 s15, s0, s1
	s_add_u32 s16, s18, s16
	s_addc_u32 s15, 0, s15
	s_mul_hi_u32 s19, s14, s17
	s_mul_i32 s17, s14, s17
	s_add_u32 s16, s16, s17
	s_mul_hi_u32 s18, s14, s1
	s_addc_u32 s15, s15, s19
	s_addc_u32 s16, s18, 0
	s_mul_i32 s1, s14, s1
	s_add_u32 s1, s15, s1
	s_addc_u32 s15, 0, s16
	s_add_u32 s16, s0, s1
	s_cselect_b64 s[0:1], -1, 0
	s_cmp_lg_u64 s[0:1], 0
	s_addc_u32 s14, s14, s15
	s_mul_i32 s0, s3, s14
	s_mul_hi_u32 s1, s3, s16
	s_add_i32 s0, s1, s0
	s_mul_i32 s11, s11, s16
	s_add_i32 s0, s0, s11
	s_mul_i32 s3, s3, s16
	s_mul_hi_u32 s11, s14, s3
	s_mul_i32 s15, s14, s3
	s_mul_i32 s18, s16, s0
	s_mul_hi_u32 s3, s16, s3
	s_mul_hi_u32 s17, s16, s0
	s_add_u32 s3, s3, s18
	s_addc_u32 s17, 0, s17
	s_add_u32 s3, s3, s15
	s_mul_hi_u32 s1, s14, s0
	s_addc_u32 s3, s17, s11
	s_addc_u32 s1, s1, 0
	s_mul_i32 s0, s14, s0
	s_add_u32 s0, s3, s0
	s_addc_u32 s3, 0, s1
	s_add_u32 s11, s16, s0
	s_cselect_b64 s[0:1], -1, 0
	s_cmp_lg_u64 s[0:1], 0
	v_add_co_u32_e32 v1, vcc, v6, v3
	s_addc_u32 s3, s14, s3
	v_xor_b32_e32 v10, v1, v3
	v_mad_u64_u32 v[1:2], s[0:1], v10, s3, 0
	v_mul_hi_u32 v8, v10, s11
	v_addc_co_u32_e32 v5, vcc, v7, v3, vcc
	v_xor_b32_e32 v5, v5, v3
	v_add_co_u32_e32 v11, vcc, v8, v1
	v_addc_co_u32_e32 v12, vcc, 0, v2, vcc
	v_mad_u64_u32 v[1:2], s[0:1], v5, s11, 0
	v_mad_u64_u32 v[8:9], s[0:1], v5, s3, 0
	v_add_co_u32_e32 v1, vcc, v11, v1
	v_addc_co_u32_e32 v1, vcc, v12, v2, vcc
	v_addc_co_u32_e32 v2, vcc, 0, v9, vcc
	v_add_co_u32_e32 v8, vcc, v1, v8
	v_addc_co_u32_e32 v9, vcc, 0, v2, vcc
	v_mul_lo_u32 v11, s13, v8
	v_mul_lo_u32 v12, s12, v9
	v_mad_u64_u32 v[1:2], s[0:1], s12, v8, 0
	v_xor_b32_e32 v3, s10, v3
	v_add3_u32 v2, v2, v12, v11
	v_sub_u32_e32 v11, v5, v2
	v_mov_b32_e32 v12, s13
	v_sub_co_u32_e32 v1, vcc, v10, v1
	v_subb_co_u32_e64 v10, s[0:1], v11, v12, vcc
	v_subrev_co_u32_e64 v11, s[0:1], s12, v1
	v_subbrev_co_u32_e64 v10, s[0:1], 0, v10, s[0:1]
	v_cmp_le_u32_e64 s[0:1], s13, v10
	v_cndmask_b32_e64 v12, 0, -1, s[0:1]
	v_cmp_le_u32_e64 s[0:1], s12, v11
	v_cndmask_b32_e64 v11, 0, -1, s[0:1]
	v_cmp_eq_u32_e64 s[0:1], s13, v10
	v_cndmask_b32_e64 v10, v12, v11, s[0:1]
	v_add_co_u32_e64 v11, s[0:1], 2, v8
	v_subb_co_u32_e32 v2, vcc, v5, v2, vcc
	v_addc_co_u32_e64 v12, s[0:1], 0, v9, s[0:1]
	v_cmp_le_u32_e32 vcc, s13, v2
	v_add_co_u32_e64 v13, s[0:1], 1, v8
	v_cndmask_b32_e64 v5, 0, -1, vcc
	v_cmp_le_u32_e32 vcc, s12, v1
	v_addc_co_u32_e64 v14, s[0:1], 0, v9, s[0:1]
	v_cndmask_b32_e64 v1, 0, -1, vcc
	v_cmp_eq_u32_e32 vcc, s13, v2
	v_cmp_ne_u32_e64 s[0:1], 0, v10
	v_cndmask_b32_e32 v1, v5, v1, vcc
	v_cmp_ne_u32_e32 vcc, 0, v1
	v_cndmask_b32_e64 v2, v13, v11, s[0:1]
	v_cndmask_b32_e64 v10, v14, v12, s[0:1]
	v_cndmask_b32_e32 v2, v8, v2, vcc
	v_cndmask_b32_e32 v1, v9, v10, vcc
	v_xor_b32_e32 v2, v2, v3
	v_xor_b32_e32 v1, v1, v3
	v_sub_co_u32_e32 v2, vcc, v2, v3
	v_subb_co_u32_e32 v3, vcc, v1, v3, vcc
.LBB152_2:
	s_andn2_saveexec_b64 s[0:1], s[8:9]
	s_cbranch_execz .LBB152_4
; %bb.3:
	v_cvt_f32_u32_e32 v1, s28
	s_sub_i32 s3, 0, s28
	v_rcp_iflag_f32_e32 v1, v1
	v_mul_f32_e32 v1, 0x4f7ffffe, v1
	v_cvt_u32_f32_e32 v1, v1
	v_mul_lo_u32 v2, s3, v1
	v_mul_hi_u32 v2, v1, v2
	v_add_u32_e32 v1, v1, v2
	v_mul_hi_u32 v1, v6, v1
	v_mul_lo_u32 v2, v1, s28
	v_add_u32_e32 v3, 1, v1
	v_sub_u32_e32 v2, v6, v2
	v_subrev_u32_e32 v5, s28, v2
	v_cmp_le_u32_e32 vcc, s28, v2
	v_cndmask_b32_e32 v2, v2, v5, vcc
	v_cndmask_b32_e32 v1, v1, v3, vcc
	v_add_u32_e32 v3, 1, v1
	v_cmp_le_u32_e32 vcc, s28, v2
	v_cndmask_b32_e32 v2, v1, v3, vcc
	v_mov_b32_e32 v3, 0
.LBB152_4:
	s_or_b64 exec, exec, s[0:1]
	v_mov_b32_e32 v1, 0
	s_and_b32 s0, s2, 0xffff
	v_mov_b32_e32 v5, s6
	v_mad_u64_u32 v[8:9], s[0:1], s0, v5, v[0:1]
	v_cmp_gt_i64_e32 vcc, s[24:25], v[8:9]
	s_and_saveexec_b64 s[0:1], vcc
	s_cbranch_execz .LBB152_22
; %bb.5:
	s_load_dwordx2 s[34:35], s[4:5], 0x8
	s_load_dwordx16 s[8:23], s[4:5], 0x10
	s_lshr_b32 s0, s2, 16
	v_mov_b32_e32 v5, v1
	v_mov_b32_e32 v0, s7
	v_mad_u64_u32 v[4:5], s[0:1], s0, v0, v[4:5]
	s_waitcnt lgkmcnt(0)
	v_cmp_gt_i64_e32 vcc, s[14:15], v[2:3]
	s_and_saveexec_b64 s[36:37], vcc
	s_cbranch_execz .LBB152_21
; %bb.6:
	v_mul_lo_u32 v10, v3, s28
	v_mul_lo_u32 v11, v2, s29
	v_mad_u64_u32 v[0:1], s[0:1], v2, s28, 0
	v_mul_lo_u32 v14, v3, s22
	v_mul_lo_u32 v15, v2, s23
	v_add3_u32 v1, v1, v11, v10
	v_sub_co_u32_e32 v10, vcc, v6, v0
	v_subb_co_u32_e32 v11, vcc, v7, v1, vcc
	v_mad_u64_u32 v[0:1], s[2:3], v2, s22, 0
	v_mul_lo_u32 v16, s21, v10
	v_mul_lo_u32 v17, s20, v11
	v_mad_u64_u32 v[12:13], s[2:3], s20, v10, 0
	s_load_dwordx2 s[6:7], s[4:5], 0x0
	v_add3_u32 v1, v1, v15, v14
	v_add3_u32 v13, v13, v17, v16
	v_mul_lo_u32 v16, s19, v4
	v_mul_lo_u32 v17, s18, v5
	v_mad_u64_u32 v[14:15], s[4:5], s18, v4, 0
	v_lshlrev_b64 v[0:1], 2, v[0:1]
	v_lshlrev_b64 v[12:13], 2, v[12:13]
	v_add3_u32 v15, v15, v17, v16
	v_add_co_u32_e64 v18, s[4:5], v0, v12
	v_addc_co_u32_e64 v19, s[4:5], v1, v13, s[4:5]
	v_lshlrev_b64 v[0:1], 2, v[14:15]
	v_mul_lo_u32 v14, s17, v8
	v_mul_lo_u32 v15, s16, v9
	v_mad_u64_u32 v[12:13], s[4:5], s16, v8, 0
	v_add_co_u32_e64 v16, s[4:5], v18, v0
	v_add3_u32 v13, v13, v15, v14
	v_addc_co_u32_e64 v17, s[4:5], v19, v1, s[4:5]
	v_lshlrev_b64 v[0:1], 2, v[12:13]
	s_waitcnt lgkmcnt(0)
	v_mov_b32_e32 v13, s7
	v_add_co_u32_e64 v0, s[4:5], v16, v0
	v_addc_co_u32_e64 v1, s[4:5], v17, v1, s[4:5]
	v_add_co_u32_e64 v12, s[4:5], s6, v0
	v_addc_co_u32_e64 v13, s[4:5], v13, v1, s[4:5]
	s_mul_i32 s4, s30, s23
	s_mul_hi_u32 s5, s30, s22
	s_add_i32 s4, s5, s4
	s_mul_i32 s5, s31, s22
	s_add_i32 s5, s4, s5
	s_mul_i32 s4, s30, s22
	s_lshl_b64 s[22:23], s[4:5], 2
	s_mul_i32 s4, s28, s21
	s_mul_hi_u32 s5, s28, s20
	s_add_i32 s4, s5, s4
	s_mul_i32 s5, s29, s20
	s_add_i32 s5, s4, s5
	s_mul_i32 s4, s28, s20
	s_lshl_b64 s[20:21], s[4:5], 2
	;; [unrolled: 7-line block ×3, first 2 shown]
	s_mul_i32 s4, s24, s17
	s_mul_hi_u32 s5, s24, s16
	s_add_i32 s4, s5, s4
	s_mul_i32 s5, s25, s16
	v_cmp_gt_i64_e32 vcc, s[12:13], v[10:11]
	v_cmp_gt_i64_e64 s[0:1], s[10:11], v[4:5]
	v_cmp_gt_i64_e64 s[2:3], s[8:9], v[8:9]
	s_add_i32 s5, s4, s5
	s_mul_i32 s4, s24, s16
	s_lshl_b64 s[16:17], s[4:5], 2
	v_mov_b32_e32 v1, 0
	s_mov_b64 s[38:39], 0
	s_branch .LBB152_9
.LBB152_7:                              ;   in Loop: Header=BB152_9 Depth=1
	s_or_b64 exec, exec, s[42:43]
.LBB152_8:                              ;   in Loop: Header=BB152_9 Depth=1
	s_or_b64 exec, exec, s[40:41]
	v_mov_b32_e32 v0, s31
	v_add_co_u32_e64 v2, s[4:5], s30, v2
	v_addc_co_u32_e64 v3, s[4:5], v3, v0, s[4:5]
	v_cmp_le_i64_e64 s[4:5], s[14:15], v[2:3]
	v_mov_b32_e32 v0, s23
	s_or_b64 s[38:39], s[4:5], s[38:39]
	v_add_co_u32_e64 v12, s[4:5], s22, v12
	v_addc_co_u32_e64 v13, s[4:5], v13, v0, s[4:5]
	s_andn2_b64 exec, exec, s[38:39]
	s_cbranch_execz .LBB152_20
.LBB152_9:                              ; =>This Loop Header: Depth=1
                                        ;     Child Loop BB152_13 Depth 2
                                        ;       Child Loop BB152_16 Depth 3
                                        ;         Child Loop BB152_18 Depth 4
	s_and_saveexec_b64 s[40:41], vcc
	s_cbranch_execz .LBB152_8
; %bb.10:                               ;   in Loop: Header=BB152_9 Depth=1
	v_mov_b32_e32 v15, v13
	v_mov_b32_e32 v17, v11
	s_mov_b64 s[42:43], 0
	v_mov_b32_e32 v14, v12
	v_mov_b32_e32 v16, v10
	s_branch .LBB152_13
.LBB152_11:                             ;   in Loop: Header=BB152_13 Depth=2
	s_or_b64 exec, exec, s[46:47]
.LBB152_12:                             ;   in Loop: Header=BB152_13 Depth=2
	s_or_b64 exec, exec, s[44:45]
	v_mov_b32_e32 v0, s29
	v_add_co_u32_e64 v16, s[4:5], s28, v16
	v_addc_co_u32_e64 v17, s[4:5], v17, v0, s[4:5]
	v_cmp_le_i64_e64 s[4:5], s[12:13], v[16:17]
	v_mov_b32_e32 v0, s21
	s_or_b64 s[42:43], s[4:5], s[42:43]
	v_add_co_u32_e64 v14, s[4:5], s20, v14
	v_addc_co_u32_e64 v15, s[4:5], v15, v0, s[4:5]
	s_andn2_b64 exec, exec, s[42:43]
	s_cbranch_execz .LBB152_7
.LBB152_13:                             ;   Parent Loop BB152_9 Depth=1
                                        ; =>  This Loop Header: Depth=2
                                        ;       Child Loop BB152_16 Depth 3
                                        ;         Child Loop BB152_18 Depth 4
	s_and_saveexec_b64 s[44:45], s[0:1]
	s_cbranch_execz .LBB152_12
; %bb.14:                               ;   in Loop: Header=BB152_13 Depth=2
	v_mov_b32_e32 v19, v15
	v_mov_b32_e32 v21, v5
	s_mov_b64 s[46:47], 0
	v_mov_b32_e32 v18, v14
	v_mov_b32_e32 v20, v4
	s_branch .LBB152_16
.LBB152_15:                             ;   in Loop: Header=BB152_16 Depth=3
	s_or_b64 exec, exec, s[48:49]
	v_mov_b32_e32 v0, s27
	v_add_co_u32_e64 v20, s[4:5], s26, v20
	v_addc_co_u32_e64 v21, s[4:5], v21, v0, s[4:5]
	v_cmp_le_i64_e64 s[4:5], s[10:11], v[20:21]
	v_mov_b32_e32 v0, s19
	s_or_b64 s[46:47], s[4:5], s[46:47]
	v_add_co_u32_e64 v18, s[4:5], s18, v18
	v_addc_co_u32_e64 v19, s[4:5], v19, v0, s[4:5]
	s_andn2_b64 exec, exec, s[46:47]
	s_cbranch_execz .LBB152_11
.LBB152_16:                             ;   Parent Loop BB152_9 Depth=1
                                        ;     Parent Loop BB152_13 Depth=2
                                        ; =>    This Loop Header: Depth=3
                                        ;         Child Loop BB152_18 Depth 4
	s_and_saveexec_b64 s[48:49], s[2:3]
	s_cbranch_execz .LBB152_15
; %bb.17:                               ;   in Loop: Header=BB152_16 Depth=3
	v_mov_b32_e32 v23, v19
	v_mov_b32_e32 v25, v9
	s_mov_b64 s[50:51], 0
	v_mov_b32_e32 v22, v18
	v_mov_b32_e32 v24, v8
.LBB152_18:                             ;   Parent Loop BB152_9 Depth=1
                                        ;     Parent Loop BB152_13 Depth=2
                                        ;       Parent Loop BB152_16 Depth=3
                                        ; =>      This Inner Loop Header: Depth=4
	global_load_dword v0, v[22:23], off
	v_mov_b32_e32 v26, s25
	v_add_co_u32_e64 v24, s[6:7], s24, v24
	v_addc_co_u32_e64 v25, s[6:7], v25, v26, s[6:7]
	v_cmp_le_i64_e64 s[6:7], s[8:9], v[24:25]
	v_mov_b32_e32 v27, s17
	v_add_co_u32_e64 v22, s[4:5], s16, v22
	v_addc_co_u32_e64 v23, s[4:5], v23, v27, s[4:5]
	s_or_b64 s[50:51], s[6:7], s[50:51]
	s_waitcnt vmcnt(0)
	v_add_f32_e32 v1, v1, v0
	s_andn2_b64 exec, exec, s[50:51]
	s_cbranch_execnz .LBB152_18
; %bb.19:                               ;   in Loop: Header=BB152_16 Depth=3
	s_or_b64 exec, exec, s[50:51]
	s_branch .LBB152_15
.LBB152_20:
	s_or_b64 exec, exec, s[38:39]
.LBB152_21:
	s_or_b64 exec, exec, s[36:37]
	v_mad_u64_u32 v[2:3], s[0:1], v6, s26, v[4:5]
	v_mul_lo_u32 v0, v6, s27
	v_mul_lo_u32 v4, v7, s26
	v_add3_u32 v0, v4, v3, v0
	v_mul_lo_u32 v4, v2, s25
	v_mad_u64_u32 v[2:3], s[0:1], v2, s24, 0
	v_mul_lo_u32 v0, v0, s24
	v_add3_u32 v3, v3, v4, v0
	v_lshlrev_b64 v[2:3], 2, v[2:3]
	v_mov_b32_e32 v0, s35
	v_add_co_u32_e32 v4, vcc, s34, v2
	v_addc_co_u32_e32 v0, vcc, v0, v3, vcc
	v_lshlrev_b64 v[2:3], 2, v[8:9]
	v_add_co_u32_e32 v2, vcc, v4, v2
	v_addc_co_u32_e32 v3, vcc, v0, v3, vcc
	global_store_dword v[2:3], v1, off
.LBB152_22:
	s_endpgm
	.section	.rodata,"a",@progbits
	.p2align	6, 0x0
	.amdhsa_kernel _ZL13k_repeat_backIfEvPKT_PS0_llllmmmmllll
		.amdhsa_group_segment_fixed_size 0
		.amdhsa_private_segment_fixed_size 0
		.amdhsa_kernarg_size 368
		.amdhsa_user_sgpr_count 6
		.amdhsa_user_sgpr_private_segment_buffer 1
		.amdhsa_user_sgpr_dispatch_ptr 0
		.amdhsa_user_sgpr_queue_ptr 0
		.amdhsa_user_sgpr_kernarg_segment_ptr 1
		.amdhsa_user_sgpr_dispatch_id 0
		.amdhsa_user_sgpr_flat_scratch_init 0
		.amdhsa_user_sgpr_private_segment_size 0
		.amdhsa_uses_dynamic_stack 0
		.amdhsa_system_sgpr_private_segment_wavefront_offset 0
		.amdhsa_system_sgpr_workgroup_id_x 1
		.amdhsa_system_sgpr_workgroup_id_y 1
		.amdhsa_system_sgpr_workgroup_id_z 1
		.amdhsa_system_sgpr_workgroup_info 0
		.amdhsa_system_vgpr_workitem_id 2
		.amdhsa_next_free_vgpr 28
		.amdhsa_next_free_sgpr 52
		.amdhsa_reserve_vcc 1
		.amdhsa_reserve_flat_scratch 0
		.amdhsa_float_round_mode_32 0
		.amdhsa_float_round_mode_16_64 0
		.amdhsa_float_denorm_mode_32 3
		.amdhsa_float_denorm_mode_16_64 3
		.amdhsa_dx10_clamp 1
		.amdhsa_ieee_mode 1
		.amdhsa_fp16_overflow 0
		.amdhsa_exception_fp_ieee_invalid_op 0
		.amdhsa_exception_fp_denorm_src 0
		.amdhsa_exception_fp_ieee_div_zero 0
		.amdhsa_exception_fp_ieee_overflow 0
		.amdhsa_exception_fp_ieee_underflow 0
		.amdhsa_exception_fp_ieee_inexact 0
		.amdhsa_exception_int_div_zero 0
	.end_amdhsa_kernel
	.section	.text._ZL13k_repeat_backIfEvPKT_PS0_llllmmmmllll,"axG",@progbits,_ZL13k_repeat_backIfEvPKT_PS0_llllmmmmllll,comdat
.Lfunc_end152:
	.size	_ZL13k_repeat_backIfEvPKT_PS0_llllmmmmllll, .Lfunc_end152-_ZL13k_repeat_backIfEvPKT_PS0_llllmmmmllll
                                        ; -- End function
	.set _ZL13k_repeat_backIfEvPKT_PS0_llllmmmmllll.num_vgpr, 28
	.set _ZL13k_repeat_backIfEvPKT_PS0_llllmmmmllll.num_agpr, 0
	.set _ZL13k_repeat_backIfEvPKT_PS0_llllmmmmllll.numbered_sgpr, 52
	.set _ZL13k_repeat_backIfEvPKT_PS0_llllmmmmllll.num_named_barrier, 0
	.set _ZL13k_repeat_backIfEvPKT_PS0_llllmmmmllll.private_seg_size, 0
	.set _ZL13k_repeat_backIfEvPKT_PS0_llllmmmmllll.uses_vcc, 1
	.set _ZL13k_repeat_backIfEvPKT_PS0_llllmmmmllll.uses_flat_scratch, 0
	.set _ZL13k_repeat_backIfEvPKT_PS0_llllmmmmllll.has_dyn_sized_stack, 0
	.set _ZL13k_repeat_backIfEvPKT_PS0_llllmmmmllll.has_recursion, 0
	.set _ZL13k_repeat_backIfEvPKT_PS0_llllmmmmllll.has_indirect_call, 0
	.section	.AMDGPU.csdata,"",@progbits
; Kernel info:
; codeLenInByte = 1804
; TotalNumSgprs: 56
; NumVgprs: 28
; ScratchSize: 0
; MemoryBound: 0
; FloatMode: 240
; IeeeMode: 1
; LDSByteSize: 0 bytes/workgroup (compile time only)
; SGPRBlocks: 6
; VGPRBlocks: 6
; NumSGPRsForWavesPerEU: 56
; NumVGPRsForWavesPerEU: 28
; Occupancy: 9
; WaveLimiterHint : 0
; COMPUTE_PGM_RSRC2:SCRATCH_EN: 0
; COMPUTE_PGM_RSRC2:USER_SGPR: 6
; COMPUTE_PGM_RSRC2:TRAP_HANDLER: 0
; COMPUTE_PGM_RSRC2:TGID_X_EN: 1
; COMPUTE_PGM_RSRC2:TGID_Y_EN: 1
; COMPUTE_PGM_RSRC2:TGID_Z_EN: 1
; COMPUTE_PGM_RSRC2:TIDIG_COMP_CNT: 2
	.section	.AMDGPU.gpr_maximums,"",@progbits
	.set amdgpu.max_num_vgpr, 0
	.set amdgpu.max_num_agpr, 0
	.set amdgpu.max_num_sgpr, 0
	.section	.AMDGPU.csdata,"",@progbits
	.type	__hip_cuid_4d61e0d37c5d17ef,@object ; @__hip_cuid_4d61e0d37c5d17ef
	.section	.bss,"aw",@nobits
	.globl	__hip_cuid_4d61e0d37c5d17ef
__hip_cuid_4d61e0d37c5d17ef:
	.byte	0                               ; 0x0
	.size	__hip_cuid_4d61e0d37c5d17ef, 1

	.ident	"AMD clang version 22.0.0git (https://github.com/RadeonOpenCompute/llvm-project roc-7.2.4 26084 f58b06dce1f9c15707c5f808fd002e18c2accf7e)"
	.section	".note.GNU-stack","",@progbits
	.addrsig
	.addrsig_sym __hip_cuid_4d61e0d37c5d17ef
	.amdgpu_metadata
---
amdhsa.kernels:
  - .args:
      - .address_space:  global
        .offset:         0
        .size:           8
        .value_kind:     global_buffer
      - .address_space:  global
        .offset:         8
        .size:           8
        .value_kind:     global_buffer
      - .address_space:  global
        .offset:         16
        .size:           8
        .value_kind:     global_buffer
      - .offset:         24
        .size:           12
        .value_kind:     by_value
      - .offset:         36
        .size:           12
        .value_kind:     by_value
      - .offset:         48
        .size:           12
        .value_kind:     by_value
      - .offset:         60
        .size:           4
        .value_kind:     by_value
      - .offset:         64
        .size:           12
        .value_kind:     by_value
      - .offset:         76
        .size:           12
        .value_kind:     by_value
      - .offset:         88
        .size:           12
        .value_kind:     by_value
      - .offset:         100
        .size:           12
        .value_kind:     by_value
      - .offset:         112
        .size:           12
        .value_kind:     by_value
      - .offset:         124
        .size:           12
        .value_kind:     by_value
      - .offset:         136
        .size:           4
        .value_kind:     by_value
      - .offset:         140
        .size:           4
        .value_kind:     by_value
      - .offset:         144
        .size:           4
        .value_kind:     by_value
      - .offset:         148
        .size:           4
        .value_kind:     by_value
      - .offset:         152
        .size:           4
        .value_kind:     by_value
      - .offset:         156
        .size:           4
        .value_kind:     by_value
      - .offset:         160
        .size:           4
        .value_kind:     by_value
      - .offset:         164
        .size:           4
        .value_kind:     by_value
      - .offset:         168
        .size:           4
        .value_kind:     by_value
      - .offset:         172
        .size:           4
        .value_kind:     by_value
      - .offset:         176
        .size:           4
        .value_kind:     by_value
      - .offset:         184
        .size:           4
        .value_kind:     hidden_block_count_x
      - .offset:         188
        .size:           4
        .value_kind:     hidden_block_count_y
      - .offset:         192
        .size:           4
        .value_kind:     hidden_block_count_z
      - .offset:         196
        .size:           2
        .value_kind:     hidden_group_size_x
      - .offset:         198
        .size:           2
        .value_kind:     hidden_group_size_y
      - .offset:         200
        .size:           2
        .value_kind:     hidden_group_size_z
      - .offset:         202
        .size:           2
        .value_kind:     hidden_remainder_x
      - .offset:         204
        .size:           2
        .value_kind:     hidden_remainder_y
      - .offset:         206
        .size:           2
        .value_kind:     hidden_remainder_z
      - .offset:         224
        .size:           8
        .value_kind:     hidden_global_offset_x
      - .offset:         232
        .size:           8
        .value_kind:     hidden_global_offset_y
      - .offset:         240
        .size:           8
        .value_kind:     hidden_global_offset_z
      - .offset:         248
        .size:           2
        .value_kind:     hidden_grid_dims
    .group_segment_fixed_size: 0
    .kernarg_segment_align: 8
    .kernarg_segment_size: 440
    .language:       OpenCL C
    .language_version:
      - 2
      - 0
    .max_flat_workgroup_size: 1024
    .name:           _ZL19k_bin_bcast_unravelIXadL_ZL9op_repeatffEEfffJEEvPKT0_PKT1_PT2_15HIP_vector_typeIjLj3EES9_S9_jS9_S9_S9_S9_S9_S9_iiiiiiiiiiiDpT3_
    .private_segment_fixed_size: 0
    .sgpr_count:     28
    .sgpr_spill_count: 0
    .symbol:         _ZL19k_bin_bcast_unravelIXadL_ZL9op_repeatffEEfffJEEvPKT0_PKT1_PT2_15HIP_vector_typeIjLj3EES9_S9_jS9_S9_S9_S9_S9_S9_iiiiiiiiiiiDpT3_.kd
    .uniform_work_group_size: 1
    .uses_dynamic_stack: false
    .vgpr_count:     9
    .vgpr_spill_count: 0
    .wavefront_size: 64
  - .args:
      - .address_space:  global
        .offset:         0
        .size:           8
        .value_kind:     global_buffer
      - .address_space:  global
        .offset:         8
        .size:           8
        .value_kind:     global_buffer
      - .address_space:  global
        .offset:         16
        .size:           8
        .value_kind:     global_buffer
      - .offset:         24
        .size:           4
        .value_kind:     by_value
      - .offset:         28
        .size:           4
        .value_kind:     by_value
      - .offset:         32
        .size:           4
        .value_kind:     by_value
      - .offset:         36
        .size:           12
        .value_kind:     by_value
      - .offset:         48
        .size:           12
        .value_kind:     by_value
      - .offset:         60
        .size:           12
        .value_kind:     by_value
      - .offset:         72
        .size:           12
        .value_kind:     by_value
      - .offset:         84
        .size:           12
        .value_kind:     by_value
      - .offset:         96
        .size:           4
        .value_kind:     by_value
      - .offset:         100
        .size:           4
        .value_kind:     by_value
      - .offset:         104
        .size:           4
        .value_kind:     by_value
      - .offset:         108
        .size:           4
        .value_kind:     by_value
      - .offset:         112
        .size:           4
        .value_kind:     by_value
      - .offset:         116
        .size:           4
        .value_kind:     by_value
      - .offset:         120
        .size:           4
        .value_kind:     by_value
      - .offset:         124
        .size:           4
        .value_kind:     by_value
      - .offset:         128
        .size:           4
        .value_kind:     by_value
      - .offset:         132
        .size:           4
        .value_kind:     by_value
      - .offset:         136
        .size:           4
        .value_kind:     by_value
      - .offset:         144
        .size:           4
        .value_kind:     hidden_block_count_x
      - .offset:         148
        .size:           4
        .value_kind:     hidden_block_count_y
      - .offset:         152
        .size:           4
        .value_kind:     hidden_block_count_z
      - .offset:         156
        .size:           2
        .value_kind:     hidden_group_size_x
      - .offset:         158
        .size:           2
        .value_kind:     hidden_group_size_y
      - .offset:         160
        .size:           2
        .value_kind:     hidden_group_size_z
      - .offset:         162
        .size:           2
        .value_kind:     hidden_remainder_x
      - .offset:         164
        .size:           2
        .value_kind:     hidden_remainder_y
      - .offset:         166
        .size:           2
        .value_kind:     hidden_remainder_z
      - .offset:         184
        .size:           8
        .value_kind:     hidden_global_offset_x
      - .offset:         192
        .size:           8
        .value_kind:     hidden_global_offset_y
      - .offset:         200
        .size:           8
        .value_kind:     hidden_global_offset_z
      - .offset:         208
        .size:           2
        .value_kind:     hidden_grid_dims
    .group_segment_fixed_size: 0
    .kernarg_segment_align: 8
    .kernarg_segment_size: 400
    .language:       OpenCL C
    .language_version:
      - 2
      - 0
    .max_flat_workgroup_size: 1024
    .name:           _ZL11k_bin_bcastIXadL_ZL9op_repeatffEEfffJEEvPKT0_PKT1_PT2_iii15HIP_vector_typeIjLj3EES9_S9_S9_S9_iiiiiiiiiiiDpT3_
    .private_segment_fixed_size: 0
    .sgpr_count:     36
    .sgpr_spill_count: 0
    .symbol:         _ZL11k_bin_bcastIXadL_ZL9op_repeatffEEfffJEEvPKT0_PKT1_PT2_iii15HIP_vector_typeIjLj3EES9_S9_S9_S9_iiiiiiiiiiiDpT3_.kd
    .uniform_work_group_size: 1
    .uses_dynamic_stack: false
    .vgpr_count:     10
    .vgpr_spill_count: 0
    .wavefront_size: 64
  - .args:
      - .address_space:  global
        .offset:         0
        .size:           8
        .value_kind:     global_buffer
      - .address_space:  global
        .offset:         8
        .size:           8
        .value_kind:     global_buffer
      - .address_space:  global
        .offset:         16
        .size:           8
        .value_kind:     global_buffer
      - .offset:         24
        .size:           12
        .value_kind:     by_value
      - .offset:         36
        .size:           12
        .value_kind:     by_value
      - .offset:         48
        .size:           12
        .value_kind:     by_value
      - .offset:         60
        .size:           4
        .value_kind:     by_value
      - .offset:         64
        .size:           12
        .value_kind:     by_value
      - .offset:         76
        .size:           12
        .value_kind:     by_value
      - .offset:         88
        .size:           12
        .value_kind:     by_value
      - .offset:         100
        .size:           12
        .value_kind:     by_value
      - .offset:         112
        .size:           12
        .value_kind:     by_value
      - .offset:         124
        .size:           12
        .value_kind:     by_value
      - .offset:         136
        .size:           4
        .value_kind:     by_value
      - .offset:         140
        .size:           4
        .value_kind:     by_value
      - .offset:         144
        .size:           4
        .value_kind:     by_value
      - .offset:         148
        .size:           4
        .value_kind:     by_value
      - .offset:         152
        .size:           4
        .value_kind:     by_value
      - .offset:         156
        .size:           4
        .value_kind:     by_value
      - .offset:         160
        .size:           4
        .value_kind:     by_value
      - .offset:         164
        .size:           4
        .value_kind:     by_value
      - .offset:         168
        .size:           4
        .value_kind:     by_value
      - .offset:         172
        .size:           4
        .value_kind:     by_value
      - .offset:         176
        .size:           4
        .value_kind:     by_value
      - .offset:         184
        .size:           4
        .value_kind:     hidden_block_count_x
      - .offset:         188
        .size:           4
        .value_kind:     hidden_block_count_y
      - .offset:         192
        .size:           4
        .value_kind:     hidden_block_count_z
      - .offset:         196
        .size:           2
        .value_kind:     hidden_group_size_x
      - .offset:         198
        .size:           2
        .value_kind:     hidden_group_size_y
      - .offset:         200
        .size:           2
        .value_kind:     hidden_group_size_z
      - .offset:         202
        .size:           2
        .value_kind:     hidden_remainder_x
      - .offset:         204
        .size:           2
        .value_kind:     hidden_remainder_y
      - .offset:         206
        .size:           2
        .value_kind:     hidden_remainder_z
      - .offset:         224
        .size:           8
        .value_kind:     hidden_global_offset_x
      - .offset:         232
        .size:           8
        .value_kind:     hidden_global_offset_y
      - .offset:         240
        .size:           8
        .value_kind:     hidden_global_offset_z
      - .offset:         248
        .size:           2
        .value_kind:     hidden_grid_dims
    .group_segment_fixed_size: 0
    .kernarg_segment_align: 8
    .kernarg_segment_size: 440
    .language:       OpenCL C
    .language_version:
      - 2
      - 0
    .max_flat_workgroup_size: 1024
    .name:           _ZL19k_bin_bcast_unravelIXadL_ZL9op_repeatffEE6__halfS0_S0_JEEvPKT0_PKT1_PT2_15HIP_vector_typeIjLj3EESA_SA_jSA_SA_SA_SA_SA_SA_iiiiiiiiiiiDpT3_
    .private_segment_fixed_size: 0
    .sgpr_count:     28
    .sgpr_spill_count: 0
    .symbol:         _ZL19k_bin_bcast_unravelIXadL_ZL9op_repeatffEE6__halfS0_S0_JEEvPKT0_PKT1_PT2_15HIP_vector_typeIjLj3EESA_SA_jSA_SA_SA_SA_SA_SA_iiiiiiiiiiiDpT3_.kd
    .uniform_work_group_size: 1
    .uses_dynamic_stack: false
    .vgpr_count:     9
    .vgpr_spill_count: 0
    .wavefront_size: 64
  - .args:
      - .address_space:  global
        .offset:         0
        .size:           8
        .value_kind:     global_buffer
      - .address_space:  global
        .offset:         8
        .size:           8
        .value_kind:     global_buffer
      - .address_space:  global
        .offset:         16
        .size:           8
        .value_kind:     global_buffer
      - .offset:         24
        .size:           4
        .value_kind:     by_value
      - .offset:         28
        .size:           4
        .value_kind:     by_value
      - .offset:         32
        .size:           4
        .value_kind:     by_value
      - .offset:         36
        .size:           12
        .value_kind:     by_value
      - .offset:         48
        .size:           12
        .value_kind:     by_value
      - .offset:         60
        .size:           12
        .value_kind:     by_value
      - .offset:         72
        .size:           12
        .value_kind:     by_value
      - .offset:         84
        .size:           12
        .value_kind:     by_value
      - .offset:         96
        .size:           4
        .value_kind:     by_value
      - .offset:         100
        .size:           4
        .value_kind:     by_value
      - .offset:         104
        .size:           4
        .value_kind:     by_value
      - .offset:         108
        .size:           4
        .value_kind:     by_value
      - .offset:         112
        .size:           4
        .value_kind:     by_value
      - .offset:         116
        .size:           4
        .value_kind:     by_value
      - .offset:         120
        .size:           4
        .value_kind:     by_value
      - .offset:         124
        .size:           4
        .value_kind:     by_value
      - .offset:         128
        .size:           4
        .value_kind:     by_value
      - .offset:         132
        .size:           4
        .value_kind:     by_value
      - .offset:         136
        .size:           4
        .value_kind:     by_value
      - .offset:         144
        .size:           4
        .value_kind:     hidden_block_count_x
      - .offset:         148
        .size:           4
        .value_kind:     hidden_block_count_y
      - .offset:         152
        .size:           4
        .value_kind:     hidden_block_count_z
      - .offset:         156
        .size:           2
        .value_kind:     hidden_group_size_x
      - .offset:         158
        .size:           2
        .value_kind:     hidden_group_size_y
      - .offset:         160
        .size:           2
        .value_kind:     hidden_group_size_z
      - .offset:         162
        .size:           2
        .value_kind:     hidden_remainder_x
      - .offset:         164
        .size:           2
        .value_kind:     hidden_remainder_y
      - .offset:         166
        .size:           2
        .value_kind:     hidden_remainder_z
      - .offset:         184
        .size:           8
        .value_kind:     hidden_global_offset_x
      - .offset:         192
        .size:           8
        .value_kind:     hidden_global_offset_y
      - .offset:         200
        .size:           8
        .value_kind:     hidden_global_offset_z
      - .offset:         208
        .size:           2
        .value_kind:     hidden_grid_dims
    .group_segment_fixed_size: 0
    .kernarg_segment_align: 8
    .kernarg_segment_size: 400
    .language:       OpenCL C
    .language_version:
      - 2
      - 0
    .max_flat_workgroup_size: 1024
    .name:           _ZL11k_bin_bcastIXadL_ZL9op_repeatffEE6__halfS0_S0_JEEvPKT0_PKT1_PT2_iii15HIP_vector_typeIjLj3EESA_SA_SA_SA_iiiiiiiiiiiDpT3_
    .private_segment_fixed_size: 0
    .sgpr_count:     36
    .sgpr_spill_count: 0
    .symbol:         _ZL11k_bin_bcastIXadL_ZL9op_repeatffEE6__halfS0_S0_JEEvPKT0_PKT1_PT2_iii15HIP_vector_typeIjLj3EESA_SA_SA_SA_iiiiiiiiiiiDpT3_.kd
    .uniform_work_group_size: 1
    .uses_dynamic_stack: false
    .vgpr_count:     10
    .vgpr_spill_count: 0
    .wavefront_size: 64
  - .args:
      - .address_space:  global
        .offset:         0
        .size:           8
        .value_kind:     global_buffer
      - .address_space:  global
        .offset:         8
        .size:           8
        .value_kind:     global_buffer
      - .address_space:  global
        .offset:         16
        .size:           8
        .value_kind:     global_buffer
      - .offset:         24
        .size:           12
        .value_kind:     by_value
      - .offset:         36
        .size:           12
        .value_kind:     by_value
      - .offset:         48
        .size:           12
        .value_kind:     by_value
      - .offset:         60
        .size:           4
        .value_kind:     by_value
      - .offset:         64
        .size:           12
        .value_kind:     by_value
      - .offset:         76
        .size:           12
        .value_kind:     by_value
      - .offset:         88
        .size:           12
        .value_kind:     by_value
      - .offset:         100
        .size:           12
        .value_kind:     by_value
      - .offset:         112
        .size:           12
        .value_kind:     by_value
      - .offset:         124
        .size:           12
        .value_kind:     by_value
      - .offset:         136
        .size:           4
        .value_kind:     by_value
      - .offset:         140
        .size:           4
        .value_kind:     by_value
      - .offset:         144
        .size:           4
        .value_kind:     by_value
      - .offset:         148
        .size:           4
        .value_kind:     by_value
      - .offset:         152
        .size:           4
        .value_kind:     by_value
      - .offset:         156
        .size:           4
        .value_kind:     by_value
      - .offset:         160
        .size:           4
        .value_kind:     by_value
      - .offset:         164
        .size:           4
        .value_kind:     by_value
      - .offset:         168
        .size:           4
        .value_kind:     by_value
      - .offset:         172
        .size:           4
        .value_kind:     by_value
      - .offset:         176
        .size:           4
        .value_kind:     by_value
      - .offset:         184
        .size:           4
        .value_kind:     hidden_block_count_x
      - .offset:         188
        .size:           4
        .value_kind:     hidden_block_count_y
      - .offset:         192
        .size:           4
        .value_kind:     hidden_block_count_z
      - .offset:         196
        .size:           2
        .value_kind:     hidden_group_size_x
      - .offset:         198
        .size:           2
        .value_kind:     hidden_group_size_y
      - .offset:         200
        .size:           2
        .value_kind:     hidden_group_size_z
      - .offset:         202
        .size:           2
        .value_kind:     hidden_remainder_x
      - .offset:         204
        .size:           2
        .value_kind:     hidden_remainder_y
      - .offset:         206
        .size:           2
        .value_kind:     hidden_remainder_z
      - .offset:         224
        .size:           8
        .value_kind:     hidden_global_offset_x
      - .offset:         232
        .size:           8
        .value_kind:     hidden_global_offset_y
      - .offset:         240
        .size:           8
        .value_kind:     hidden_global_offset_z
      - .offset:         248
        .size:           2
        .value_kind:     hidden_grid_dims
    .group_segment_fixed_size: 0
    .kernarg_segment_align: 8
    .kernarg_segment_size: 440
    .language:       OpenCL C
    .language_version:
      - 2
      - 0
    .max_flat_workgroup_size: 1024
    .name:           _ZL19k_bin_bcast_unravelIXadL_ZL9op_repeatffEE6__halffS0_JEEvPKT0_PKT1_PT2_15HIP_vector_typeIjLj3EESA_SA_jSA_SA_SA_SA_SA_SA_iiiiiiiiiiiDpT3_
    .private_segment_fixed_size: 0
    .sgpr_count:     28
    .sgpr_spill_count: 0
    .symbol:         _ZL19k_bin_bcast_unravelIXadL_ZL9op_repeatffEE6__halffS0_JEEvPKT0_PKT1_PT2_15HIP_vector_typeIjLj3EESA_SA_jSA_SA_SA_SA_SA_SA_iiiiiiiiiiiDpT3_.kd
    .uniform_work_group_size: 1
    .uses_dynamic_stack: false
    .vgpr_count:     9
    .vgpr_spill_count: 0
    .wavefront_size: 64
  - .args:
      - .address_space:  global
        .offset:         0
        .size:           8
        .value_kind:     global_buffer
      - .address_space:  global
        .offset:         8
        .size:           8
        .value_kind:     global_buffer
      - .address_space:  global
        .offset:         16
        .size:           8
        .value_kind:     global_buffer
      - .offset:         24
        .size:           4
        .value_kind:     by_value
      - .offset:         28
        .size:           4
        .value_kind:     by_value
      - .offset:         32
        .size:           4
        .value_kind:     by_value
      - .offset:         36
        .size:           12
        .value_kind:     by_value
      - .offset:         48
        .size:           12
        .value_kind:     by_value
      - .offset:         60
        .size:           12
        .value_kind:     by_value
      - .offset:         72
        .size:           12
        .value_kind:     by_value
      - .offset:         84
        .size:           12
        .value_kind:     by_value
      - .offset:         96
        .size:           4
        .value_kind:     by_value
      - .offset:         100
        .size:           4
        .value_kind:     by_value
      - .offset:         104
        .size:           4
        .value_kind:     by_value
      - .offset:         108
        .size:           4
        .value_kind:     by_value
      - .offset:         112
        .size:           4
        .value_kind:     by_value
      - .offset:         116
        .size:           4
        .value_kind:     by_value
      - .offset:         120
        .size:           4
        .value_kind:     by_value
      - .offset:         124
        .size:           4
        .value_kind:     by_value
      - .offset:         128
        .size:           4
        .value_kind:     by_value
      - .offset:         132
        .size:           4
        .value_kind:     by_value
      - .offset:         136
        .size:           4
        .value_kind:     by_value
      - .offset:         144
        .size:           4
        .value_kind:     hidden_block_count_x
      - .offset:         148
        .size:           4
        .value_kind:     hidden_block_count_y
      - .offset:         152
        .size:           4
        .value_kind:     hidden_block_count_z
      - .offset:         156
        .size:           2
        .value_kind:     hidden_group_size_x
      - .offset:         158
        .size:           2
        .value_kind:     hidden_group_size_y
      - .offset:         160
        .size:           2
        .value_kind:     hidden_group_size_z
      - .offset:         162
        .size:           2
        .value_kind:     hidden_remainder_x
      - .offset:         164
        .size:           2
        .value_kind:     hidden_remainder_y
      - .offset:         166
        .size:           2
        .value_kind:     hidden_remainder_z
      - .offset:         184
        .size:           8
        .value_kind:     hidden_global_offset_x
      - .offset:         192
        .size:           8
        .value_kind:     hidden_global_offset_y
      - .offset:         200
        .size:           8
        .value_kind:     hidden_global_offset_z
      - .offset:         208
        .size:           2
        .value_kind:     hidden_grid_dims
    .group_segment_fixed_size: 0
    .kernarg_segment_align: 8
    .kernarg_segment_size: 400
    .language:       OpenCL C
    .language_version:
      - 2
      - 0
    .max_flat_workgroup_size: 1024
    .name:           _ZL11k_bin_bcastIXadL_ZL9op_repeatffEE6__halffS0_JEEvPKT0_PKT1_PT2_iii15HIP_vector_typeIjLj3EESA_SA_SA_SA_iiiiiiiiiiiDpT3_
    .private_segment_fixed_size: 0
    .sgpr_count:     36
    .sgpr_spill_count: 0
    .symbol:         _ZL11k_bin_bcastIXadL_ZL9op_repeatffEE6__halffS0_JEEvPKT0_PKT1_PT2_iii15HIP_vector_typeIjLj3EESA_SA_SA_SA_iiiiiiiiiiiDpT3_.kd
    .uniform_work_group_size: 1
    .uses_dynamic_stack: false
    .vgpr_count:     10
    .vgpr_spill_count: 0
    .wavefront_size: 64
  - .args:
      - .address_space:  global
        .offset:         0
        .size:           8
        .value_kind:     global_buffer
      - .address_space:  global
        .offset:         8
        .size:           8
        .value_kind:     global_buffer
      - .address_space:  global
        .offset:         16
        .size:           8
        .value_kind:     global_buffer
      - .offset:         24
        .size:           12
        .value_kind:     by_value
      - .offset:         36
        .size:           12
        .value_kind:     by_value
      - .offset:         48
        .size:           12
        .value_kind:     by_value
      - .offset:         60
        .size:           4
        .value_kind:     by_value
      - .offset:         64
        .size:           12
        .value_kind:     by_value
      - .offset:         76
        .size:           12
        .value_kind:     by_value
      - .offset:         88
        .size:           12
        .value_kind:     by_value
      - .offset:         100
        .size:           12
        .value_kind:     by_value
      - .offset:         112
        .size:           12
        .value_kind:     by_value
      - .offset:         124
        .size:           12
        .value_kind:     by_value
      - .offset:         136
        .size:           4
        .value_kind:     by_value
      - .offset:         140
        .size:           4
        .value_kind:     by_value
      - .offset:         144
        .size:           4
        .value_kind:     by_value
      - .offset:         148
        .size:           4
        .value_kind:     by_value
      - .offset:         152
        .size:           4
        .value_kind:     by_value
      - .offset:         156
        .size:           4
        .value_kind:     by_value
      - .offset:         160
        .size:           4
        .value_kind:     by_value
      - .offset:         164
        .size:           4
        .value_kind:     by_value
      - .offset:         168
        .size:           4
        .value_kind:     by_value
      - .offset:         172
        .size:           4
        .value_kind:     by_value
      - .offset:         176
        .size:           4
        .value_kind:     by_value
      - .offset:         184
        .size:           4
        .value_kind:     hidden_block_count_x
      - .offset:         188
        .size:           4
        .value_kind:     hidden_block_count_y
      - .offset:         192
        .size:           4
        .value_kind:     hidden_block_count_z
      - .offset:         196
        .size:           2
        .value_kind:     hidden_group_size_x
      - .offset:         198
        .size:           2
        .value_kind:     hidden_group_size_y
      - .offset:         200
        .size:           2
        .value_kind:     hidden_group_size_z
      - .offset:         202
        .size:           2
        .value_kind:     hidden_remainder_x
      - .offset:         204
        .size:           2
        .value_kind:     hidden_remainder_y
      - .offset:         206
        .size:           2
        .value_kind:     hidden_remainder_z
      - .offset:         224
        .size:           8
        .value_kind:     hidden_global_offset_x
      - .offset:         232
        .size:           8
        .value_kind:     hidden_global_offset_y
      - .offset:         240
        .size:           8
        .value_kind:     hidden_global_offset_z
      - .offset:         248
        .size:           2
        .value_kind:     hidden_grid_dims
    .group_segment_fixed_size: 0
    .kernarg_segment_align: 8
    .kernarg_segment_size: 440
    .language:       OpenCL C
    .language_version:
      - 2
      - 0
    .max_flat_workgroup_size: 1024
    .name:           _ZL19k_bin_bcast_unravelIXadL_ZL9op_repeatffEE6__halfffJEEvPKT0_PKT1_PT2_15HIP_vector_typeIjLj3EESA_SA_jSA_SA_SA_SA_SA_SA_iiiiiiiiiiiDpT3_
    .private_segment_fixed_size: 0
    .sgpr_count:     28
    .sgpr_spill_count: 0
    .symbol:         _ZL19k_bin_bcast_unravelIXadL_ZL9op_repeatffEE6__halfffJEEvPKT0_PKT1_PT2_15HIP_vector_typeIjLj3EESA_SA_jSA_SA_SA_SA_SA_SA_iiiiiiiiiiiDpT3_.kd
    .uniform_work_group_size: 1
    .uses_dynamic_stack: false
    .vgpr_count:     9
    .vgpr_spill_count: 0
    .wavefront_size: 64
  - .args:
      - .address_space:  global
        .offset:         0
        .size:           8
        .value_kind:     global_buffer
      - .address_space:  global
        .offset:         8
        .size:           8
        .value_kind:     global_buffer
      - .address_space:  global
        .offset:         16
        .size:           8
        .value_kind:     global_buffer
      - .offset:         24
        .size:           4
        .value_kind:     by_value
      - .offset:         28
        .size:           4
        .value_kind:     by_value
      - .offset:         32
        .size:           4
        .value_kind:     by_value
      - .offset:         36
        .size:           12
        .value_kind:     by_value
      - .offset:         48
        .size:           12
        .value_kind:     by_value
      - .offset:         60
        .size:           12
        .value_kind:     by_value
      - .offset:         72
        .size:           12
        .value_kind:     by_value
      - .offset:         84
        .size:           12
        .value_kind:     by_value
      - .offset:         96
        .size:           4
        .value_kind:     by_value
      - .offset:         100
        .size:           4
        .value_kind:     by_value
      - .offset:         104
        .size:           4
        .value_kind:     by_value
      - .offset:         108
        .size:           4
        .value_kind:     by_value
      - .offset:         112
        .size:           4
        .value_kind:     by_value
      - .offset:         116
        .size:           4
        .value_kind:     by_value
      - .offset:         120
        .size:           4
        .value_kind:     by_value
      - .offset:         124
        .size:           4
        .value_kind:     by_value
      - .offset:         128
        .size:           4
        .value_kind:     by_value
      - .offset:         132
        .size:           4
        .value_kind:     by_value
      - .offset:         136
        .size:           4
        .value_kind:     by_value
      - .offset:         144
        .size:           4
        .value_kind:     hidden_block_count_x
      - .offset:         148
        .size:           4
        .value_kind:     hidden_block_count_y
      - .offset:         152
        .size:           4
        .value_kind:     hidden_block_count_z
      - .offset:         156
        .size:           2
        .value_kind:     hidden_group_size_x
      - .offset:         158
        .size:           2
        .value_kind:     hidden_group_size_y
      - .offset:         160
        .size:           2
        .value_kind:     hidden_group_size_z
      - .offset:         162
        .size:           2
        .value_kind:     hidden_remainder_x
      - .offset:         164
        .size:           2
        .value_kind:     hidden_remainder_y
      - .offset:         166
        .size:           2
        .value_kind:     hidden_remainder_z
      - .offset:         184
        .size:           8
        .value_kind:     hidden_global_offset_x
      - .offset:         192
        .size:           8
        .value_kind:     hidden_global_offset_y
      - .offset:         200
        .size:           8
        .value_kind:     hidden_global_offset_z
      - .offset:         208
        .size:           2
        .value_kind:     hidden_grid_dims
    .group_segment_fixed_size: 0
    .kernarg_segment_align: 8
    .kernarg_segment_size: 400
    .language:       OpenCL C
    .language_version:
      - 2
      - 0
    .max_flat_workgroup_size: 1024
    .name:           _ZL11k_bin_bcastIXadL_ZL9op_repeatffEE6__halfffJEEvPKT0_PKT1_PT2_iii15HIP_vector_typeIjLj3EESA_SA_SA_SA_iiiiiiiiiiiDpT3_
    .private_segment_fixed_size: 0
    .sgpr_count:     36
    .sgpr_spill_count: 0
    .symbol:         _ZL11k_bin_bcastIXadL_ZL9op_repeatffEE6__halfffJEEvPKT0_PKT1_PT2_iii15HIP_vector_typeIjLj3EESA_SA_SA_SA_iiiiiiiiiiiDpT3_.kd
    .uniform_work_group_size: 1
    .uses_dynamic_stack: false
    .vgpr_count:     10
    .vgpr_spill_count: 0
    .wavefront_size: 64
  - .args:
      - .address_space:  global
        .offset:         0
        .size:           8
        .value_kind:     global_buffer
      - .address_space:  global
        .offset:         8
        .size:           8
        .value_kind:     global_buffer
      - .address_space:  global
        .offset:         16
        .size:           8
        .value_kind:     global_buffer
      - .offset:         24
        .size:           12
        .value_kind:     by_value
      - .offset:         36
        .size:           12
        .value_kind:     by_value
      - .offset:         48
        .size:           12
        .value_kind:     by_value
      - .offset:         60
        .size:           4
        .value_kind:     by_value
      - .offset:         64
        .size:           12
        .value_kind:     by_value
      - .offset:         76
        .size:           12
        .value_kind:     by_value
      - .offset:         88
        .size:           12
        .value_kind:     by_value
      - .offset:         100
        .size:           12
        .value_kind:     by_value
      - .offset:         112
        .size:           12
        .value_kind:     by_value
      - .offset:         124
        .size:           12
        .value_kind:     by_value
      - .offset:         136
        .size:           4
        .value_kind:     by_value
      - .offset:         140
        .size:           4
        .value_kind:     by_value
      - .offset:         144
        .size:           4
        .value_kind:     by_value
      - .offset:         148
        .size:           4
        .value_kind:     by_value
      - .offset:         152
        .size:           4
        .value_kind:     by_value
      - .offset:         156
        .size:           4
        .value_kind:     by_value
      - .offset:         160
        .size:           4
        .value_kind:     by_value
      - .offset:         164
        .size:           4
        .value_kind:     by_value
      - .offset:         168
        .size:           4
        .value_kind:     by_value
      - .offset:         172
        .size:           4
        .value_kind:     by_value
      - .offset:         176
        .size:           4
        .value_kind:     by_value
      - .address_space:  global
        .offset:         184
        .size:           8
        .value_kind:     global_buffer
      - .offset:         192
        .size:           4
        .value_kind:     hidden_block_count_x
      - .offset:         196
        .size:           4
        .value_kind:     hidden_block_count_y
      - .offset:         200
        .size:           4
        .value_kind:     hidden_block_count_z
      - .offset:         204
        .size:           2
        .value_kind:     hidden_group_size_x
      - .offset:         206
        .size:           2
        .value_kind:     hidden_group_size_y
      - .offset:         208
        .size:           2
        .value_kind:     hidden_group_size_z
      - .offset:         210
        .size:           2
        .value_kind:     hidden_remainder_x
      - .offset:         212
        .size:           2
        .value_kind:     hidden_remainder_y
      - .offset:         214
        .size:           2
        .value_kind:     hidden_remainder_z
      - .offset:         232
        .size:           8
        .value_kind:     hidden_global_offset_x
      - .offset:         240
        .size:           8
        .value_kind:     hidden_global_offset_y
      - .offset:         248
        .size:           8
        .value_kind:     hidden_global_offset_z
      - .offset:         256
        .size:           2
        .value_kind:     hidden_grid_dims
    .group_segment_fixed_size: 0
    .kernarg_segment_align: 8
    .kernarg_segment_size: 448
    .language:       OpenCL C
    .language_version:
      - 2
      - 0
    .max_flat_workgroup_size: 1024
    .name:           _ZL19k_bin_bcast_unravelIXadL_ZL6op_addffEEfffJPKfEEvPKT0_PKT1_PT2_15HIP_vector_typeIjLj3EESB_SB_jSB_SB_SB_SB_SB_SB_iiiiiiiiiiiDpT3_
    .private_segment_fixed_size: 0
    .sgpr_count:     32
    .sgpr_spill_count: 0
    .symbol:         _ZL19k_bin_bcast_unravelIXadL_ZL6op_addffEEfffJPKfEEvPKT0_PKT1_PT2_15HIP_vector_typeIjLj3EESB_SB_jSB_SB_SB_SB_SB_SB_iiiiiiiiiiiDpT3_.kd
    .uniform_work_group_size: 1
    .uses_dynamic_stack: false
    .vgpr_count:     11
    .vgpr_spill_count: 0
    .wavefront_size: 64
  - .args:
      - .address_space:  global
        .offset:         0
        .size:           8
        .value_kind:     global_buffer
      - .address_space:  global
        .offset:         8
        .size:           8
        .value_kind:     global_buffer
      - .address_space:  global
        .offset:         16
        .size:           8
        .value_kind:     global_buffer
      - .offset:         24
        .size:           4
        .value_kind:     by_value
      - .offset:         28
        .size:           4
        .value_kind:     by_value
      - .offset:         32
        .size:           4
        .value_kind:     by_value
      - .offset:         36
        .size:           12
        .value_kind:     by_value
      - .offset:         48
        .size:           12
        .value_kind:     by_value
      - .offset:         60
        .size:           12
        .value_kind:     by_value
      - .offset:         72
        .size:           12
        .value_kind:     by_value
      - .offset:         84
        .size:           12
        .value_kind:     by_value
      - .offset:         96
        .size:           4
        .value_kind:     by_value
      - .offset:         100
        .size:           4
        .value_kind:     by_value
      - .offset:         104
        .size:           4
        .value_kind:     by_value
      - .offset:         108
        .size:           4
        .value_kind:     by_value
      - .offset:         112
        .size:           4
        .value_kind:     by_value
      - .offset:         116
        .size:           4
        .value_kind:     by_value
      - .offset:         120
        .size:           4
        .value_kind:     by_value
      - .offset:         124
        .size:           4
        .value_kind:     by_value
      - .offset:         128
        .size:           4
        .value_kind:     by_value
      - .offset:         132
        .size:           4
        .value_kind:     by_value
      - .offset:         136
        .size:           4
        .value_kind:     by_value
      - .address_space:  global
        .offset:         144
        .size:           8
        .value_kind:     global_buffer
      - .offset:         152
        .size:           4
        .value_kind:     hidden_block_count_x
      - .offset:         156
        .size:           4
        .value_kind:     hidden_block_count_y
      - .offset:         160
        .size:           4
        .value_kind:     hidden_block_count_z
      - .offset:         164
        .size:           2
        .value_kind:     hidden_group_size_x
      - .offset:         166
        .size:           2
        .value_kind:     hidden_group_size_y
      - .offset:         168
        .size:           2
        .value_kind:     hidden_group_size_z
      - .offset:         170
        .size:           2
        .value_kind:     hidden_remainder_x
      - .offset:         172
        .size:           2
        .value_kind:     hidden_remainder_y
      - .offset:         174
        .size:           2
        .value_kind:     hidden_remainder_z
      - .offset:         192
        .size:           8
        .value_kind:     hidden_global_offset_x
      - .offset:         200
        .size:           8
        .value_kind:     hidden_global_offset_y
      - .offset:         208
        .size:           8
        .value_kind:     hidden_global_offset_z
      - .offset:         216
        .size:           2
        .value_kind:     hidden_grid_dims
    .group_segment_fixed_size: 0
    .kernarg_segment_align: 8
    .kernarg_segment_size: 408
    .language:       OpenCL C
    .language_version:
      - 2
      - 0
    .max_flat_workgroup_size: 1024
    .name:           _ZL11k_bin_bcastIXadL_ZL6op_addffEEfffJPKfEEvPKT0_PKT1_PT2_iii15HIP_vector_typeIjLj3EESB_SB_SB_SB_iiiiiiiiiiiDpT3_
    .private_segment_fixed_size: 0
    .sgpr_count:     48
    .sgpr_spill_count: 0
    .symbol:         _ZL11k_bin_bcastIXadL_ZL6op_addffEEfffJPKfEEvPKT0_PKT1_PT2_iii15HIP_vector_typeIjLj3EESB_SB_SB_SB_iiiiiiiiiiiDpT3_.kd
    .uniform_work_group_size: 1
    .uses_dynamic_stack: false
    .vgpr_count:     14
    .vgpr_spill_count: 0
    .wavefront_size: 64
  - .args:
      - .address_space:  global
        .offset:         0
        .size:           8
        .value_kind:     global_buffer
      - .address_space:  global
        .offset:         8
        .size:           8
        .value_kind:     global_buffer
      - .address_space:  global
        .offset:         16
        .size:           8
        .value_kind:     global_buffer
      - .offset:         24
        .size:           12
        .value_kind:     by_value
      - .offset:         36
        .size:           12
        .value_kind:     by_value
      - .offset:         48
        .size:           12
        .value_kind:     by_value
      - .offset:         60
        .size:           4
        .value_kind:     by_value
      - .offset:         64
        .size:           12
        .value_kind:     by_value
      - .offset:         76
        .size:           12
        .value_kind:     by_value
      - .offset:         88
        .size:           12
        .value_kind:     by_value
      - .offset:         100
        .size:           12
        .value_kind:     by_value
      - .offset:         112
        .size:           12
        .value_kind:     by_value
      - .offset:         124
        .size:           12
        .value_kind:     by_value
      - .offset:         136
        .size:           4
        .value_kind:     by_value
      - .offset:         140
        .size:           4
        .value_kind:     by_value
      - .offset:         144
        .size:           4
        .value_kind:     by_value
      - .offset:         148
        .size:           4
        .value_kind:     by_value
      - .offset:         152
        .size:           4
        .value_kind:     by_value
      - .offset:         156
        .size:           4
        .value_kind:     by_value
      - .offset:         160
        .size:           4
        .value_kind:     by_value
      - .offset:         164
        .size:           4
        .value_kind:     by_value
      - .offset:         168
        .size:           4
        .value_kind:     by_value
      - .offset:         172
        .size:           4
        .value_kind:     by_value
      - .offset:         176
        .size:           4
        .value_kind:     by_value
      - .address_space:  global
        .offset:         184
        .size:           8
        .value_kind:     global_buffer
      - .offset:         192
        .size:           4
        .value_kind:     hidden_block_count_x
      - .offset:         196
        .size:           4
        .value_kind:     hidden_block_count_y
      - .offset:         200
        .size:           4
        .value_kind:     hidden_block_count_z
      - .offset:         204
        .size:           2
        .value_kind:     hidden_group_size_x
      - .offset:         206
        .size:           2
        .value_kind:     hidden_group_size_y
      - .offset:         208
        .size:           2
        .value_kind:     hidden_group_size_z
      - .offset:         210
        .size:           2
        .value_kind:     hidden_remainder_x
      - .offset:         212
        .size:           2
        .value_kind:     hidden_remainder_y
      - .offset:         214
        .size:           2
        .value_kind:     hidden_remainder_z
      - .offset:         232
        .size:           8
        .value_kind:     hidden_global_offset_x
      - .offset:         240
        .size:           8
        .value_kind:     hidden_global_offset_y
      - .offset:         248
        .size:           8
        .value_kind:     hidden_global_offset_z
      - .offset:         256
        .size:           2
        .value_kind:     hidden_grid_dims
    .group_segment_fixed_size: 0
    .kernarg_segment_align: 8
    .kernarg_segment_size: 448
    .language:       OpenCL C
    .language_version:
      - 2
      - 0
    .max_flat_workgroup_size: 1024
    .name:           _ZL19k_bin_bcast_unravelIXadL_ZL6op_addffEE6__halfS0_S0_JPKS0_EEvPKT0_PKT1_PT2_15HIP_vector_typeIjLj3EESC_SC_jSC_SC_SC_SC_SC_SC_iiiiiiiiiiiDpT3_
    .private_segment_fixed_size: 0
    .sgpr_count:     32
    .sgpr_spill_count: 0
    .symbol:         _ZL19k_bin_bcast_unravelIXadL_ZL6op_addffEE6__halfS0_S0_JPKS0_EEvPKT0_PKT1_PT2_15HIP_vector_typeIjLj3EESC_SC_jSC_SC_SC_SC_SC_SC_iiiiiiiiiiiDpT3_.kd
    .uniform_work_group_size: 1
    .uses_dynamic_stack: false
    .vgpr_count:     11
    .vgpr_spill_count: 0
    .wavefront_size: 64
  - .args:
      - .address_space:  global
        .offset:         0
        .size:           8
        .value_kind:     global_buffer
      - .address_space:  global
        .offset:         8
        .size:           8
        .value_kind:     global_buffer
      - .address_space:  global
        .offset:         16
        .size:           8
        .value_kind:     global_buffer
      - .offset:         24
        .size:           4
        .value_kind:     by_value
      - .offset:         28
        .size:           4
        .value_kind:     by_value
      - .offset:         32
        .size:           4
        .value_kind:     by_value
      - .offset:         36
        .size:           12
        .value_kind:     by_value
      - .offset:         48
        .size:           12
        .value_kind:     by_value
      - .offset:         60
        .size:           12
        .value_kind:     by_value
      - .offset:         72
        .size:           12
        .value_kind:     by_value
      - .offset:         84
        .size:           12
        .value_kind:     by_value
      - .offset:         96
        .size:           4
        .value_kind:     by_value
      - .offset:         100
        .size:           4
        .value_kind:     by_value
      - .offset:         104
        .size:           4
        .value_kind:     by_value
      - .offset:         108
        .size:           4
        .value_kind:     by_value
      - .offset:         112
        .size:           4
        .value_kind:     by_value
      - .offset:         116
        .size:           4
        .value_kind:     by_value
      - .offset:         120
        .size:           4
        .value_kind:     by_value
      - .offset:         124
        .size:           4
        .value_kind:     by_value
      - .offset:         128
        .size:           4
        .value_kind:     by_value
      - .offset:         132
        .size:           4
        .value_kind:     by_value
      - .offset:         136
        .size:           4
        .value_kind:     by_value
      - .address_space:  global
        .offset:         144
        .size:           8
        .value_kind:     global_buffer
      - .offset:         152
        .size:           4
        .value_kind:     hidden_block_count_x
      - .offset:         156
        .size:           4
        .value_kind:     hidden_block_count_y
      - .offset:         160
        .size:           4
        .value_kind:     hidden_block_count_z
      - .offset:         164
        .size:           2
        .value_kind:     hidden_group_size_x
      - .offset:         166
        .size:           2
        .value_kind:     hidden_group_size_y
      - .offset:         168
        .size:           2
        .value_kind:     hidden_group_size_z
      - .offset:         170
        .size:           2
        .value_kind:     hidden_remainder_x
      - .offset:         172
        .size:           2
        .value_kind:     hidden_remainder_y
      - .offset:         174
        .size:           2
        .value_kind:     hidden_remainder_z
      - .offset:         192
        .size:           8
        .value_kind:     hidden_global_offset_x
      - .offset:         200
        .size:           8
        .value_kind:     hidden_global_offset_y
      - .offset:         208
        .size:           8
        .value_kind:     hidden_global_offset_z
      - .offset:         216
        .size:           2
        .value_kind:     hidden_grid_dims
    .group_segment_fixed_size: 0
    .kernarg_segment_align: 8
    .kernarg_segment_size: 408
    .language:       OpenCL C
    .language_version:
      - 2
      - 0
    .max_flat_workgroup_size: 1024
    .name:           _ZL11k_bin_bcastIXadL_ZL6op_addffEE6__halfS0_S0_JPKS0_EEvPKT0_PKT1_PT2_iii15HIP_vector_typeIjLj3EESC_SC_SC_SC_iiiiiiiiiiiDpT3_
    .private_segment_fixed_size: 0
    .sgpr_count:     48
    .sgpr_spill_count: 0
    .symbol:         _ZL11k_bin_bcastIXadL_ZL6op_addffEE6__halfS0_S0_JPKS0_EEvPKT0_PKT1_PT2_iii15HIP_vector_typeIjLj3EESC_SC_SC_SC_iiiiiiiiiiiDpT3_.kd
    .uniform_work_group_size: 1
    .uses_dynamic_stack: false
    .vgpr_count:     14
    .vgpr_spill_count: 0
    .wavefront_size: 64
  - .args:
      - .address_space:  global
        .offset:         0
        .size:           8
        .value_kind:     global_buffer
      - .address_space:  global
        .offset:         8
        .size:           8
        .value_kind:     global_buffer
      - .address_space:  global
        .offset:         16
        .size:           8
        .value_kind:     global_buffer
      - .offset:         24
        .size:           12
        .value_kind:     by_value
      - .offset:         36
        .size:           12
        .value_kind:     by_value
      - .offset:         48
        .size:           12
        .value_kind:     by_value
      - .offset:         60
        .size:           4
        .value_kind:     by_value
      - .offset:         64
        .size:           12
        .value_kind:     by_value
      - .offset:         76
        .size:           12
        .value_kind:     by_value
      - .offset:         88
        .size:           12
        .value_kind:     by_value
      - .offset:         100
        .size:           12
        .value_kind:     by_value
      - .offset:         112
        .size:           12
        .value_kind:     by_value
      - .offset:         124
        .size:           12
        .value_kind:     by_value
      - .offset:         136
        .size:           4
        .value_kind:     by_value
      - .offset:         140
        .size:           4
        .value_kind:     by_value
      - .offset:         144
        .size:           4
        .value_kind:     by_value
      - .offset:         148
        .size:           4
        .value_kind:     by_value
      - .offset:         152
        .size:           4
        .value_kind:     by_value
      - .offset:         156
        .size:           4
        .value_kind:     by_value
      - .offset:         160
        .size:           4
        .value_kind:     by_value
      - .offset:         164
        .size:           4
        .value_kind:     by_value
      - .offset:         168
        .size:           4
        .value_kind:     by_value
      - .offset:         172
        .size:           4
        .value_kind:     by_value
      - .offset:         176
        .size:           4
        .value_kind:     by_value
      - .address_space:  global
        .offset:         184
        .size:           8
        .value_kind:     global_buffer
      - .offset:         192
        .size:           4
        .value_kind:     hidden_block_count_x
      - .offset:         196
        .size:           4
        .value_kind:     hidden_block_count_y
      - .offset:         200
        .size:           4
        .value_kind:     hidden_block_count_z
      - .offset:         204
        .size:           2
        .value_kind:     hidden_group_size_x
      - .offset:         206
        .size:           2
        .value_kind:     hidden_group_size_y
      - .offset:         208
        .size:           2
        .value_kind:     hidden_group_size_z
      - .offset:         210
        .size:           2
        .value_kind:     hidden_remainder_x
      - .offset:         212
        .size:           2
        .value_kind:     hidden_remainder_y
      - .offset:         214
        .size:           2
        .value_kind:     hidden_remainder_z
      - .offset:         232
        .size:           8
        .value_kind:     hidden_global_offset_x
      - .offset:         240
        .size:           8
        .value_kind:     hidden_global_offset_y
      - .offset:         248
        .size:           8
        .value_kind:     hidden_global_offset_z
      - .offset:         256
        .size:           2
        .value_kind:     hidden_grid_dims
    .group_segment_fixed_size: 0
    .kernarg_segment_align: 8
    .kernarg_segment_size: 448
    .language:       OpenCL C
    .language_version:
      - 2
      - 0
    .max_flat_workgroup_size: 1024
    .name:           _ZL19k_bin_bcast_unravelIXadL_ZL6op_addffEE6__halffS0_JPKfEEvPKT0_PKT1_PT2_15HIP_vector_typeIjLj3EESC_SC_jSC_SC_SC_SC_SC_SC_iiiiiiiiiiiDpT3_
    .private_segment_fixed_size: 0
    .sgpr_count:     32
    .sgpr_spill_count: 0
    .symbol:         _ZL19k_bin_bcast_unravelIXadL_ZL6op_addffEE6__halffS0_JPKfEEvPKT0_PKT1_PT2_15HIP_vector_typeIjLj3EESC_SC_jSC_SC_SC_SC_SC_SC_iiiiiiiiiiiDpT3_.kd
    .uniform_work_group_size: 1
    .uses_dynamic_stack: false
    .vgpr_count:     11
    .vgpr_spill_count: 0
    .wavefront_size: 64
  - .args:
      - .address_space:  global
        .offset:         0
        .size:           8
        .value_kind:     global_buffer
      - .address_space:  global
        .offset:         8
        .size:           8
        .value_kind:     global_buffer
      - .address_space:  global
        .offset:         16
        .size:           8
        .value_kind:     global_buffer
      - .offset:         24
        .size:           4
        .value_kind:     by_value
      - .offset:         28
        .size:           4
        .value_kind:     by_value
      - .offset:         32
        .size:           4
        .value_kind:     by_value
      - .offset:         36
        .size:           12
        .value_kind:     by_value
      - .offset:         48
        .size:           12
        .value_kind:     by_value
      - .offset:         60
        .size:           12
        .value_kind:     by_value
      - .offset:         72
        .size:           12
        .value_kind:     by_value
      - .offset:         84
        .size:           12
        .value_kind:     by_value
      - .offset:         96
        .size:           4
        .value_kind:     by_value
      - .offset:         100
        .size:           4
        .value_kind:     by_value
      - .offset:         104
        .size:           4
        .value_kind:     by_value
      - .offset:         108
        .size:           4
        .value_kind:     by_value
      - .offset:         112
        .size:           4
        .value_kind:     by_value
      - .offset:         116
        .size:           4
        .value_kind:     by_value
      - .offset:         120
        .size:           4
        .value_kind:     by_value
      - .offset:         124
        .size:           4
        .value_kind:     by_value
      - .offset:         128
        .size:           4
        .value_kind:     by_value
      - .offset:         132
        .size:           4
        .value_kind:     by_value
      - .offset:         136
        .size:           4
        .value_kind:     by_value
      - .address_space:  global
        .offset:         144
        .size:           8
        .value_kind:     global_buffer
      - .offset:         152
        .size:           4
        .value_kind:     hidden_block_count_x
      - .offset:         156
        .size:           4
        .value_kind:     hidden_block_count_y
      - .offset:         160
        .size:           4
        .value_kind:     hidden_block_count_z
      - .offset:         164
        .size:           2
        .value_kind:     hidden_group_size_x
      - .offset:         166
        .size:           2
        .value_kind:     hidden_group_size_y
      - .offset:         168
        .size:           2
        .value_kind:     hidden_group_size_z
      - .offset:         170
        .size:           2
        .value_kind:     hidden_remainder_x
      - .offset:         172
        .size:           2
        .value_kind:     hidden_remainder_y
      - .offset:         174
        .size:           2
        .value_kind:     hidden_remainder_z
      - .offset:         192
        .size:           8
        .value_kind:     hidden_global_offset_x
      - .offset:         200
        .size:           8
        .value_kind:     hidden_global_offset_y
      - .offset:         208
        .size:           8
        .value_kind:     hidden_global_offset_z
      - .offset:         216
        .size:           2
        .value_kind:     hidden_grid_dims
    .group_segment_fixed_size: 0
    .kernarg_segment_align: 8
    .kernarg_segment_size: 408
    .language:       OpenCL C
    .language_version:
      - 2
      - 0
    .max_flat_workgroup_size: 1024
    .name:           _ZL11k_bin_bcastIXadL_ZL6op_addffEE6__halffS0_JPKfEEvPKT0_PKT1_PT2_iii15HIP_vector_typeIjLj3EESC_SC_SC_SC_iiiiiiiiiiiDpT3_
    .private_segment_fixed_size: 0
    .sgpr_count:     48
    .sgpr_spill_count: 0
    .symbol:         _ZL11k_bin_bcastIXadL_ZL6op_addffEE6__halffS0_JPKfEEvPKT0_PKT1_PT2_iii15HIP_vector_typeIjLj3EESC_SC_SC_SC_iiiiiiiiiiiDpT3_.kd
    .uniform_work_group_size: 1
    .uses_dynamic_stack: false
    .vgpr_count:     14
    .vgpr_spill_count: 0
    .wavefront_size: 64
  - .args:
      - .address_space:  global
        .offset:         0
        .size:           8
        .value_kind:     global_buffer
      - .address_space:  global
        .offset:         8
        .size:           8
        .value_kind:     global_buffer
      - .address_space:  global
        .offset:         16
        .size:           8
        .value_kind:     global_buffer
      - .offset:         24
        .size:           12
        .value_kind:     by_value
      - .offset:         36
        .size:           12
        .value_kind:     by_value
      - .offset:         48
        .size:           12
        .value_kind:     by_value
      - .offset:         60
        .size:           4
        .value_kind:     by_value
      - .offset:         64
        .size:           12
        .value_kind:     by_value
      - .offset:         76
        .size:           12
        .value_kind:     by_value
      - .offset:         88
        .size:           12
        .value_kind:     by_value
      - .offset:         100
        .size:           12
        .value_kind:     by_value
      - .offset:         112
        .size:           12
        .value_kind:     by_value
      - .offset:         124
        .size:           12
        .value_kind:     by_value
      - .offset:         136
        .size:           4
        .value_kind:     by_value
      - .offset:         140
        .size:           4
        .value_kind:     by_value
      - .offset:         144
        .size:           4
        .value_kind:     by_value
      - .offset:         148
        .size:           4
        .value_kind:     by_value
      - .offset:         152
        .size:           4
        .value_kind:     by_value
      - .offset:         156
        .size:           4
        .value_kind:     by_value
      - .offset:         160
        .size:           4
        .value_kind:     by_value
      - .offset:         164
        .size:           4
        .value_kind:     by_value
      - .offset:         168
        .size:           4
        .value_kind:     by_value
      - .offset:         172
        .size:           4
        .value_kind:     by_value
      - .offset:         176
        .size:           4
        .value_kind:     by_value
      - .address_space:  global
        .offset:         184
        .size:           8
        .value_kind:     global_buffer
      - .offset:         192
        .size:           4
        .value_kind:     hidden_block_count_x
      - .offset:         196
        .size:           4
        .value_kind:     hidden_block_count_y
      - .offset:         200
        .size:           4
        .value_kind:     hidden_block_count_z
      - .offset:         204
        .size:           2
        .value_kind:     hidden_group_size_x
      - .offset:         206
        .size:           2
        .value_kind:     hidden_group_size_y
      - .offset:         208
        .size:           2
        .value_kind:     hidden_group_size_z
      - .offset:         210
        .size:           2
        .value_kind:     hidden_remainder_x
      - .offset:         212
        .size:           2
        .value_kind:     hidden_remainder_y
      - .offset:         214
        .size:           2
        .value_kind:     hidden_remainder_z
      - .offset:         232
        .size:           8
        .value_kind:     hidden_global_offset_x
      - .offset:         240
        .size:           8
        .value_kind:     hidden_global_offset_y
      - .offset:         248
        .size:           8
        .value_kind:     hidden_global_offset_z
      - .offset:         256
        .size:           2
        .value_kind:     hidden_grid_dims
    .group_segment_fixed_size: 0
    .kernarg_segment_align: 8
    .kernarg_segment_size: 448
    .language:       OpenCL C
    .language_version:
      - 2
      - 0
    .max_flat_workgroup_size: 1024
    .name:           _ZL19k_bin_bcast_unravelIXadL_ZL6op_addffEE6__halfffJPKfEEvPKT0_PKT1_PT2_15HIP_vector_typeIjLj3EESC_SC_jSC_SC_SC_SC_SC_SC_iiiiiiiiiiiDpT3_
    .private_segment_fixed_size: 0
    .sgpr_count:     32
    .sgpr_spill_count: 0
    .symbol:         _ZL19k_bin_bcast_unravelIXadL_ZL6op_addffEE6__halfffJPKfEEvPKT0_PKT1_PT2_15HIP_vector_typeIjLj3EESC_SC_jSC_SC_SC_SC_SC_SC_iiiiiiiiiiiDpT3_.kd
    .uniform_work_group_size: 1
    .uses_dynamic_stack: false
    .vgpr_count:     11
    .vgpr_spill_count: 0
    .wavefront_size: 64
  - .args:
      - .address_space:  global
        .offset:         0
        .size:           8
        .value_kind:     global_buffer
      - .address_space:  global
        .offset:         8
        .size:           8
        .value_kind:     global_buffer
      - .address_space:  global
        .offset:         16
        .size:           8
        .value_kind:     global_buffer
      - .offset:         24
        .size:           4
        .value_kind:     by_value
      - .offset:         28
        .size:           4
        .value_kind:     by_value
      - .offset:         32
        .size:           4
        .value_kind:     by_value
      - .offset:         36
        .size:           12
        .value_kind:     by_value
      - .offset:         48
        .size:           12
        .value_kind:     by_value
      - .offset:         60
        .size:           12
        .value_kind:     by_value
      - .offset:         72
        .size:           12
        .value_kind:     by_value
      - .offset:         84
        .size:           12
        .value_kind:     by_value
      - .offset:         96
        .size:           4
        .value_kind:     by_value
      - .offset:         100
        .size:           4
        .value_kind:     by_value
      - .offset:         104
        .size:           4
        .value_kind:     by_value
      - .offset:         108
        .size:           4
        .value_kind:     by_value
      - .offset:         112
        .size:           4
        .value_kind:     by_value
      - .offset:         116
        .size:           4
        .value_kind:     by_value
      - .offset:         120
        .size:           4
        .value_kind:     by_value
      - .offset:         124
        .size:           4
        .value_kind:     by_value
      - .offset:         128
        .size:           4
        .value_kind:     by_value
      - .offset:         132
        .size:           4
        .value_kind:     by_value
      - .offset:         136
        .size:           4
        .value_kind:     by_value
      - .address_space:  global
        .offset:         144
        .size:           8
        .value_kind:     global_buffer
      - .offset:         152
        .size:           4
        .value_kind:     hidden_block_count_x
      - .offset:         156
        .size:           4
        .value_kind:     hidden_block_count_y
      - .offset:         160
        .size:           4
        .value_kind:     hidden_block_count_z
      - .offset:         164
        .size:           2
        .value_kind:     hidden_group_size_x
      - .offset:         166
        .size:           2
        .value_kind:     hidden_group_size_y
      - .offset:         168
        .size:           2
        .value_kind:     hidden_group_size_z
      - .offset:         170
        .size:           2
        .value_kind:     hidden_remainder_x
      - .offset:         172
        .size:           2
        .value_kind:     hidden_remainder_y
      - .offset:         174
        .size:           2
        .value_kind:     hidden_remainder_z
      - .offset:         192
        .size:           8
        .value_kind:     hidden_global_offset_x
      - .offset:         200
        .size:           8
        .value_kind:     hidden_global_offset_y
      - .offset:         208
        .size:           8
        .value_kind:     hidden_global_offset_z
      - .offset:         216
        .size:           2
        .value_kind:     hidden_grid_dims
    .group_segment_fixed_size: 0
    .kernarg_segment_align: 8
    .kernarg_segment_size: 408
    .language:       OpenCL C
    .language_version:
      - 2
      - 0
    .max_flat_workgroup_size: 1024
    .name:           _ZL11k_bin_bcastIXadL_ZL6op_addffEE6__halfffJPKfEEvPKT0_PKT1_PT2_iii15HIP_vector_typeIjLj3EESC_SC_SC_SC_iiiiiiiiiiiDpT3_
    .private_segment_fixed_size: 0
    .sgpr_count:     48
    .sgpr_spill_count: 0
    .symbol:         _ZL11k_bin_bcastIXadL_ZL6op_addffEE6__halfffJPKfEEvPKT0_PKT1_PT2_iii15HIP_vector_typeIjLj3EESC_SC_SC_SC_iiiiiiiiiiiDpT3_.kd
    .uniform_work_group_size: 1
    .uses_dynamic_stack: false
    .vgpr_count:     14
    .vgpr_spill_count: 0
    .wavefront_size: 64
  - .args:
      - .address_space:  global
        .offset:         0
        .size:           8
        .value_kind:     global_buffer
      - .address_space:  global
        .offset:         8
        .size:           8
        .value_kind:     global_buffer
      - .address_space:  global
        .offset:         16
        .size:           8
        .value_kind:     global_buffer
      - .offset:         24
        .size:           12
        .value_kind:     by_value
      - .offset:         36
        .size:           12
        .value_kind:     by_value
      - .offset:         48
        .size:           12
        .value_kind:     by_value
      - .offset:         60
        .size:           4
        .value_kind:     by_value
      - .offset:         64
        .size:           12
        .value_kind:     by_value
      - .offset:         76
        .size:           12
        .value_kind:     by_value
      - .offset:         88
        .size:           12
        .value_kind:     by_value
      - .offset:         100
        .size:           12
        .value_kind:     by_value
      - .offset:         112
        .size:           12
        .value_kind:     by_value
      - .offset:         124
        .size:           12
        .value_kind:     by_value
      - .offset:         136
        .size:           4
        .value_kind:     by_value
      - .offset:         140
        .size:           4
        .value_kind:     by_value
      - .offset:         144
        .size:           4
        .value_kind:     by_value
      - .offset:         148
        .size:           4
        .value_kind:     by_value
      - .offset:         152
        .size:           4
        .value_kind:     by_value
      - .offset:         156
        .size:           4
        .value_kind:     by_value
      - .offset:         160
        .size:           4
        .value_kind:     by_value
      - .offset:         164
        .size:           4
        .value_kind:     by_value
      - .offset:         168
        .size:           4
        .value_kind:     by_value
      - .offset:         172
        .size:           4
        .value_kind:     by_value
      - .offset:         176
        .size:           4
        .value_kind:     by_value
      - .address_space:  global
        .offset:         184
        .size:           8
        .value_kind:     global_buffer
      - .offset:         192
        .size:           4
        .value_kind:     hidden_block_count_x
      - .offset:         196
        .size:           4
        .value_kind:     hidden_block_count_y
      - .offset:         200
        .size:           4
        .value_kind:     hidden_block_count_z
      - .offset:         204
        .size:           2
        .value_kind:     hidden_group_size_x
      - .offset:         206
        .size:           2
        .value_kind:     hidden_group_size_y
      - .offset:         208
        .size:           2
        .value_kind:     hidden_group_size_z
      - .offset:         210
        .size:           2
        .value_kind:     hidden_remainder_x
      - .offset:         212
        .size:           2
        .value_kind:     hidden_remainder_y
      - .offset:         214
        .size:           2
        .value_kind:     hidden_remainder_z
      - .offset:         232
        .size:           8
        .value_kind:     hidden_global_offset_x
      - .offset:         240
        .size:           8
        .value_kind:     hidden_global_offset_y
      - .offset:         248
        .size:           8
        .value_kind:     hidden_global_offset_z
      - .offset:         256
        .size:           2
        .value_kind:     hidden_grid_dims
    .group_segment_fixed_size: 0
    .kernarg_segment_align: 8
    .kernarg_segment_size: 448
    .language:       OpenCL C
    .language_version:
      - 2
      - 0
    .max_flat_workgroup_size: 1024
    .name:           _ZL19k_bin_bcast_unravelIXadL_ZL6op_subffEEfffJPKfEEvPKT0_PKT1_PT2_15HIP_vector_typeIjLj3EESB_SB_jSB_SB_SB_SB_SB_SB_iiiiiiiiiiiDpT3_
    .private_segment_fixed_size: 0
    .sgpr_count:     32
    .sgpr_spill_count: 0
    .symbol:         _ZL19k_bin_bcast_unravelIXadL_ZL6op_subffEEfffJPKfEEvPKT0_PKT1_PT2_15HIP_vector_typeIjLj3EESB_SB_jSB_SB_SB_SB_SB_SB_iiiiiiiiiiiDpT3_.kd
    .uniform_work_group_size: 1
    .uses_dynamic_stack: false
    .vgpr_count:     11
    .vgpr_spill_count: 0
    .wavefront_size: 64
  - .args:
      - .address_space:  global
        .offset:         0
        .size:           8
        .value_kind:     global_buffer
      - .address_space:  global
        .offset:         8
        .size:           8
        .value_kind:     global_buffer
      - .address_space:  global
        .offset:         16
        .size:           8
        .value_kind:     global_buffer
      - .offset:         24
        .size:           4
        .value_kind:     by_value
      - .offset:         28
        .size:           4
        .value_kind:     by_value
      - .offset:         32
        .size:           4
        .value_kind:     by_value
      - .offset:         36
        .size:           12
        .value_kind:     by_value
      - .offset:         48
        .size:           12
        .value_kind:     by_value
      - .offset:         60
        .size:           12
        .value_kind:     by_value
      - .offset:         72
        .size:           12
        .value_kind:     by_value
      - .offset:         84
        .size:           12
        .value_kind:     by_value
      - .offset:         96
        .size:           4
        .value_kind:     by_value
      - .offset:         100
        .size:           4
        .value_kind:     by_value
      - .offset:         104
        .size:           4
        .value_kind:     by_value
      - .offset:         108
        .size:           4
        .value_kind:     by_value
      - .offset:         112
        .size:           4
        .value_kind:     by_value
      - .offset:         116
        .size:           4
        .value_kind:     by_value
      - .offset:         120
        .size:           4
        .value_kind:     by_value
      - .offset:         124
        .size:           4
        .value_kind:     by_value
      - .offset:         128
        .size:           4
        .value_kind:     by_value
      - .offset:         132
        .size:           4
        .value_kind:     by_value
      - .offset:         136
        .size:           4
        .value_kind:     by_value
      - .address_space:  global
        .offset:         144
        .size:           8
        .value_kind:     global_buffer
      - .offset:         152
        .size:           4
        .value_kind:     hidden_block_count_x
      - .offset:         156
        .size:           4
        .value_kind:     hidden_block_count_y
      - .offset:         160
        .size:           4
        .value_kind:     hidden_block_count_z
      - .offset:         164
        .size:           2
        .value_kind:     hidden_group_size_x
      - .offset:         166
        .size:           2
        .value_kind:     hidden_group_size_y
      - .offset:         168
        .size:           2
        .value_kind:     hidden_group_size_z
      - .offset:         170
        .size:           2
        .value_kind:     hidden_remainder_x
      - .offset:         172
        .size:           2
        .value_kind:     hidden_remainder_y
      - .offset:         174
        .size:           2
        .value_kind:     hidden_remainder_z
      - .offset:         192
        .size:           8
        .value_kind:     hidden_global_offset_x
      - .offset:         200
        .size:           8
        .value_kind:     hidden_global_offset_y
      - .offset:         208
        .size:           8
        .value_kind:     hidden_global_offset_z
      - .offset:         216
        .size:           2
        .value_kind:     hidden_grid_dims
    .group_segment_fixed_size: 0
    .kernarg_segment_align: 8
    .kernarg_segment_size: 408
    .language:       OpenCL C
    .language_version:
      - 2
      - 0
    .max_flat_workgroup_size: 1024
    .name:           _ZL11k_bin_bcastIXadL_ZL6op_subffEEfffJPKfEEvPKT0_PKT1_PT2_iii15HIP_vector_typeIjLj3EESB_SB_SB_SB_iiiiiiiiiiiDpT3_
    .private_segment_fixed_size: 0
    .sgpr_count:     48
    .sgpr_spill_count: 0
    .symbol:         _ZL11k_bin_bcastIXadL_ZL6op_subffEEfffJPKfEEvPKT0_PKT1_PT2_iii15HIP_vector_typeIjLj3EESB_SB_SB_SB_iiiiiiiiiiiDpT3_.kd
    .uniform_work_group_size: 1
    .uses_dynamic_stack: false
    .vgpr_count:     14
    .vgpr_spill_count: 0
    .wavefront_size: 64
  - .args:
      - .address_space:  global
        .offset:         0
        .size:           8
        .value_kind:     global_buffer
      - .address_space:  global
        .offset:         8
        .size:           8
        .value_kind:     global_buffer
      - .address_space:  global
        .offset:         16
        .size:           8
        .value_kind:     global_buffer
      - .offset:         24
        .size:           12
        .value_kind:     by_value
      - .offset:         36
        .size:           12
        .value_kind:     by_value
      - .offset:         48
        .size:           12
        .value_kind:     by_value
      - .offset:         60
        .size:           4
        .value_kind:     by_value
      - .offset:         64
        .size:           12
        .value_kind:     by_value
      - .offset:         76
        .size:           12
        .value_kind:     by_value
      - .offset:         88
        .size:           12
        .value_kind:     by_value
      - .offset:         100
        .size:           12
        .value_kind:     by_value
      - .offset:         112
        .size:           12
        .value_kind:     by_value
      - .offset:         124
        .size:           12
        .value_kind:     by_value
      - .offset:         136
        .size:           4
        .value_kind:     by_value
      - .offset:         140
        .size:           4
        .value_kind:     by_value
      - .offset:         144
        .size:           4
        .value_kind:     by_value
      - .offset:         148
        .size:           4
        .value_kind:     by_value
      - .offset:         152
        .size:           4
        .value_kind:     by_value
      - .offset:         156
        .size:           4
        .value_kind:     by_value
      - .offset:         160
        .size:           4
        .value_kind:     by_value
      - .offset:         164
        .size:           4
        .value_kind:     by_value
      - .offset:         168
        .size:           4
        .value_kind:     by_value
      - .offset:         172
        .size:           4
        .value_kind:     by_value
      - .offset:         176
        .size:           4
        .value_kind:     by_value
      - .address_space:  global
        .offset:         184
        .size:           8
        .value_kind:     global_buffer
      - .offset:         192
        .size:           4
        .value_kind:     hidden_block_count_x
      - .offset:         196
        .size:           4
        .value_kind:     hidden_block_count_y
      - .offset:         200
        .size:           4
        .value_kind:     hidden_block_count_z
      - .offset:         204
        .size:           2
        .value_kind:     hidden_group_size_x
      - .offset:         206
        .size:           2
        .value_kind:     hidden_group_size_y
      - .offset:         208
        .size:           2
        .value_kind:     hidden_group_size_z
      - .offset:         210
        .size:           2
        .value_kind:     hidden_remainder_x
      - .offset:         212
        .size:           2
        .value_kind:     hidden_remainder_y
      - .offset:         214
        .size:           2
        .value_kind:     hidden_remainder_z
      - .offset:         232
        .size:           8
        .value_kind:     hidden_global_offset_x
      - .offset:         240
        .size:           8
        .value_kind:     hidden_global_offset_y
      - .offset:         248
        .size:           8
        .value_kind:     hidden_global_offset_z
      - .offset:         256
        .size:           2
        .value_kind:     hidden_grid_dims
    .group_segment_fixed_size: 0
    .kernarg_segment_align: 8
    .kernarg_segment_size: 448
    .language:       OpenCL C
    .language_version:
      - 2
      - 0
    .max_flat_workgroup_size: 1024
    .name:           _ZL19k_bin_bcast_unravelIXadL_ZL6op_subffEE6__halfS0_S0_JPKS0_EEvPKT0_PKT1_PT2_15HIP_vector_typeIjLj3EESC_SC_jSC_SC_SC_SC_SC_SC_iiiiiiiiiiiDpT3_
    .private_segment_fixed_size: 0
    .sgpr_count:     32
    .sgpr_spill_count: 0
    .symbol:         _ZL19k_bin_bcast_unravelIXadL_ZL6op_subffEE6__halfS0_S0_JPKS0_EEvPKT0_PKT1_PT2_15HIP_vector_typeIjLj3EESC_SC_jSC_SC_SC_SC_SC_SC_iiiiiiiiiiiDpT3_.kd
    .uniform_work_group_size: 1
    .uses_dynamic_stack: false
    .vgpr_count:     11
    .vgpr_spill_count: 0
    .wavefront_size: 64
  - .args:
      - .address_space:  global
        .offset:         0
        .size:           8
        .value_kind:     global_buffer
      - .address_space:  global
        .offset:         8
        .size:           8
        .value_kind:     global_buffer
      - .address_space:  global
        .offset:         16
        .size:           8
        .value_kind:     global_buffer
      - .offset:         24
        .size:           4
        .value_kind:     by_value
      - .offset:         28
        .size:           4
        .value_kind:     by_value
      - .offset:         32
        .size:           4
        .value_kind:     by_value
      - .offset:         36
        .size:           12
        .value_kind:     by_value
      - .offset:         48
        .size:           12
        .value_kind:     by_value
      - .offset:         60
        .size:           12
        .value_kind:     by_value
      - .offset:         72
        .size:           12
        .value_kind:     by_value
      - .offset:         84
        .size:           12
        .value_kind:     by_value
      - .offset:         96
        .size:           4
        .value_kind:     by_value
      - .offset:         100
        .size:           4
        .value_kind:     by_value
      - .offset:         104
        .size:           4
        .value_kind:     by_value
      - .offset:         108
        .size:           4
        .value_kind:     by_value
      - .offset:         112
        .size:           4
        .value_kind:     by_value
      - .offset:         116
        .size:           4
        .value_kind:     by_value
      - .offset:         120
        .size:           4
        .value_kind:     by_value
      - .offset:         124
        .size:           4
        .value_kind:     by_value
      - .offset:         128
        .size:           4
        .value_kind:     by_value
      - .offset:         132
        .size:           4
        .value_kind:     by_value
      - .offset:         136
        .size:           4
        .value_kind:     by_value
      - .address_space:  global
        .offset:         144
        .size:           8
        .value_kind:     global_buffer
      - .offset:         152
        .size:           4
        .value_kind:     hidden_block_count_x
      - .offset:         156
        .size:           4
        .value_kind:     hidden_block_count_y
      - .offset:         160
        .size:           4
        .value_kind:     hidden_block_count_z
      - .offset:         164
        .size:           2
        .value_kind:     hidden_group_size_x
      - .offset:         166
        .size:           2
        .value_kind:     hidden_group_size_y
      - .offset:         168
        .size:           2
        .value_kind:     hidden_group_size_z
      - .offset:         170
        .size:           2
        .value_kind:     hidden_remainder_x
      - .offset:         172
        .size:           2
        .value_kind:     hidden_remainder_y
      - .offset:         174
        .size:           2
        .value_kind:     hidden_remainder_z
      - .offset:         192
        .size:           8
        .value_kind:     hidden_global_offset_x
      - .offset:         200
        .size:           8
        .value_kind:     hidden_global_offset_y
      - .offset:         208
        .size:           8
        .value_kind:     hidden_global_offset_z
      - .offset:         216
        .size:           2
        .value_kind:     hidden_grid_dims
    .group_segment_fixed_size: 0
    .kernarg_segment_align: 8
    .kernarg_segment_size: 408
    .language:       OpenCL C
    .language_version:
      - 2
      - 0
    .max_flat_workgroup_size: 1024
    .name:           _ZL11k_bin_bcastIXadL_ZL6op_subffEE6__halfS0_S0_JPKS0_EEvPKT0_PKT1_PT2_iii15HIP_vector_typeIjLj3EESC_SC_SC_SC_iiiiiiiiiiiDpT3_
    .private_segment_fixed_size: 0
    .sgpr_count:     48
    .sgpr_spill_count: 0
    .symbol:         _ZL11k_bin_bcastIXadL_ZL6op_subffEE6__halfS0_S0_JPKS0_EEvPKT0_PKT1_PT2_iii15HIP_vector_typeIjLj3EESC_SC_SC_SC_iiiiiiiiiiiDpT3_.kd
    .uniform_work_group_size: 1
    .uses_dynamic_stack: false
    .vgpr_count:     14
    .vgpr_spill_count: 0
    .wavefront_size: 64
  - .args:
      - .address_space:  global
        .offset:         0
        .size:           8
        .value_kind:     global_buffer
      - .address_space:  global
        .offset:         8
        .size:           8
        .value_kind:     global_buffer
      - .address_space:  global
        .offset:         16
        .size:           8
        .value_kind:     global_buffer
      - .offset:         24
        .size:           12
        .value_kind:     by_value
      - .offset:         36
        .size:           12
        .value_kind:     by_value
      - .offset:         48
        .size:           12
        .value_kind:     by_value
      - .offset:         60
        .size:           4
        .value_kind:     by_value
      - .offset:         64
        .size:           12
        .value_kind:     by_value
      - .offset:         76
        .size:           12
        .value_kind:     by_value
      - .offset:         88
        .size:           12
        .value_kind:     by_value
      - .offset:         100
        .size:           12
        .value_kind:     by_value
      - .offset:         112
        .size:           12
        .value_kind:     by_value
      - .offset:         124
        .size:           12
        .value_kind:     by_value
      - .offset:         136
        .size:           4
        .value_kind:     by_value
      - .offset:         140
        .size:           4
        .value_kind:     by_value
      - .offset:         144
        .size:           4
        .value_kind:     by_value
      - .offset:         148
        .size:           4
        .value_kind:     by_value
      - .offset:         152
        .size:           4
        .value_kind:     by_value
      - .offset:         156
        .size:           4
        .value_kind:     by_value
      - .offset:         160
        .size:           4
        .value_kind:     by_value
      - .offset:         164
        .size:           4
        .value_kind:     by_value
      - .offset:         168
        .size:           4
        .value_kind:     by_value
      - .offset:         172
        .size:           4
        .value_kind:     by_value
      - .offset:         176
        .size:           4
        .value_kind:     by_value
      - .address_space:  global
        .offset:         184
        .size:           8
        .value_kind:     global_buffer
      - .offset:         192
        .size:           4
        .value_kind:     hidden_block_count_x
      - .offset:         196
        .size:           4
        .value_kind:     hidden_block_count_y
      - .offset:         200
        .size:           4
        .value_kind:     hidden_block_count_z
      - .offset:         204
        .size:           2
        .value_kind:     hidden_group_size_x
      - .offset:         206
        .size:           2
        .value_kind:     hidden_group_size_y
      - .offset:         208
        .size:           2
        .value_kind:     hidden_group_size_z
      - .offset:         210
        .size:           2
        .value_kind:     hidden_remainder_x
      - .offset:         212
        .size:           2
        .value_kind:     hidden_remainder_y
      - .offset:         214
        .size:           2
        .value_kind:     hidden_remainder_z
      - .offset:         232
        .size:           8
        .value_kind:     hidden_global_offset_x
      - .offset:         240
        .size:           8
        .value_kind:     hidden_global_offset_y
      - .offset:         248
        .size:           8
        .value_kind:     hidden_global_offset_z
      - .offset:         256
        .size:           2
        .value_kind:     hidden_grid_dims
    .group_segment_fixed_size: 0
    .kernarg_segment_align: 8
    .kernarg_segment_size: 448
    .language:       OpenCL C
    .language_version:
      - 2
      - 0
    .max_flat_workgroup_size: 1024
    .name:           _ZL19k_bin_bcast_unravelIXadL_ZL6op_subffEE6__halffS0_JPKfEEvPKT0_PKT1_PT2_15HIP_vector_typeIjLj3EESC_SC_jSC_SC_SC_SC_SC_SC_iiiiiiiiiiiDpT3_
    .private_segment_fixed_size: 0
    .sgpr_count:     32
    .sgpr_spill_count: 0
    .symbol:         _ZL19k_bin_bcast_unravelIXadL_ZL6op_subffEE6__halffS0_JPKfEEvPKT0_PKT1_PT2_15HIP_vector_typeIjLj3EESC_SC_jSC_SC_SC_SC_SC_SC_iiiiiiiiiiiDpT3_.kd
    .uniform_work_group_size: 1
    .uses_dynamic_stack: false
    .vgpr_count:     11
    .vgpr_spill_count: 0
    .wavefront_size: 64
  - .args:
      - .address_space:  global
        .offset:         0
        .size:           8
        .value_kind:     global_buffer
      - .address_space:  global
        .offset:         8
        .size:           8
        .value_kind:     global_buffer
      - .address_space:  global
        .offset:         16
        .size:           8
        .value_kind:     global_buffer
      - .offset:         24
        .size:           4
        .value_kind:     by_value
      - .offset:         28
        .size:           4
        .value_kind:     by_value
      - .offset:         32
        .size:           4
        .value_kind:     by_value
      - .offset:         36
        .size:           12
        .value_kind:     by_value
      - .offset:         48
        .size:           12
        .value_kind:     by_value
      - .offset:         60
        .size:           12
        .value_kind:     by_value
      - .offset:         72
        .size:           12
        .value_kind:     by_value
      - .offset:         84
        .size:           12
        .value_kind:     by_value
      - .offset:         96
        .size:           4
        .value_kind:     by_value
      - .offset:         100
        .size:           4
        .value_kind:     by_value
      - .offset:         104
        .size:           4
        .value_kind:     by_value
      - .offset:         108
        .size:           4
        .value_kind:     by_value
      - .offset:         112
        .size:           4
        .value_kind:     by_value
      - .offset:         116
        .size:           4
        .value_kind:     by_value
      - .offset:         120
        .size:           4
        .value_kind:     by_value
      - .offset:         124
        .size:           4
        .value_kind:     by_value
      - .offset:         128
        .size:           4
        .value_kind:     by_value
      - .offset:         132
        .size:           4
        .value_kind:     by_value
      - .offset:         136
        .size:           4
        .value_kind:     by_value
      - .address_space:  global
        .offset:         144
        .size:           8
        .value_kind:     global_buffer
      - .offset:         152
        .size:           4
        .value_kind:     hidden_block_count_x
      - .offset:         156
        .size:           4
        .value_kind:     hidden_block_count_y
      - .offset:         160
        .size:           4
        .value_kind:     hidden_block_count_z
      - .offset:         164
        .size:           2
        .value_kind:     hidden_group_size_x
      - .offset:         166
        .size:           2
        .value_kind:     hidden_group_size_y
      - .offset:         168
        .size:           2
        .value_kind:     hidden_group_size_z
      - .offset:         170
        .size:           2
        .value_kind:     hidden_remainder_x
      - .offset:         172
        .size:           2
        .value_kind:     hidden_remainder_y
      - .offset:         174
        .size:           2
        .value_kind:     hidden_remainder_z
      - .offset:         192
        .size:           8
        .value_kind:     hidden_global_offset_x
      - .offset:         200
        .size:           8
        .value_kind:     hidden_global_offset_y
      - .offset:         208
        .size:           8
        .value_kind:     hidden_global_offset_z
      - .offset:         216
        .size:           2
        .value_kind:     hidden_grid_dims
    .group_segment_fixed_size: 0
    .kernarg_segment_align: 8
    .kernarg_segment_size: 408
    .language:       OpenCL C
    .language_version:
      - 2
      - 0
    .max_flat_workgroup_size: 1024
    .name:           _ZL11k_bin_bcastIXadL_ZL6op_subffEE6__halffS0_JPKfEEvPKT0_PKT1_PT2_iii15HIP_vector_typeIjLj3EESC_SC_SC_SC_iiiiiiiiiiiDpT3_
    .private_segment_fixed_size: 0
    .sgpr_count:     48
    .sgpr_spill_count: 0
    .symbol:         _ZL11k_bin_bcastIXadL_ZL6op_subffEE6__halffS0_JPKfEEvPKT0_PKT1_PT2_iii15HIP_vector_typeIjLj3EESC_SC_SC_SC_iiiiiiiiiiiDpT3_.kd
    .uniform_work_group_size: 1
    .uses_dynamic_stack: false
    .vgpr_count:     14
    .vgpr_spill_count: 0
    .wavefront_size: 64
  - .args:
      - .address_space:  global
        .offset:         0
        .size:           8
        .value_kind:     global_buffer
      - .address_space:  global
        .offset:         8
        .size:           8
        .value_kind:     global_buffer
      - .address_space:  global
        .offset:         16
        .size:           8
        .value_kind:     global_buffer
      - .offset:         24
        .size:           12
        .value_kind:     by_value
      - .offset:         36
        .size:           12
        .value_kind:     by_value
      - .offset:         48
        .size:           12
        .value_kind:     by_value
      - .offset:         60
        .size:           4
        .value_kind:     by_value
      - .offset:         64
        .size:           12
        .value_kind:     by_value
      - .offset:         76
        .size:           12
        .value_kind:     by_value
      - .offset:         88
        .size:           12
        .value_kind:     by_value
      - .offset:         100
        .size:           12
        .value_kind:     by_value
      - .offset:         112
        .size:           12
        .value_kind:     by_value
      - .offset:         124
        .size:           12
        .value_kind:     by_value
      - .offset:         136
        .size:           4
        .value_kind:     by_value
      - .offset:         140
        .size:           4
        .value_kind:     by_value
      - .offset:         144
        .size:           4
        .value_kind:     by_value
      - .offset:         148
        .size:           4
        .value_kind:     by_value
      - .offset:         152
        .size:           4
        .value_kind:     by_value
      - .offset:         156
        .size:           4
        .value_kind:     by_value
      - .offset:         160
        .size:           4
        .value_kind:     by_value
      - .offset:         164
        .size:           4
        .value_kind:     by_value
      - .offset:         168
        .size:           4
        .value_kind:     by_value
      - .offset:         172
        .size:           4
        .value_kind:     by_value
      - .offset:         176
        .size:           4
        .value_kind:     by_value
      - .address_space:  global
        .offset:         184
        .size:           8
        .value_kind:     global_buffer
      - .offset:         192
        .size:           4
        .value_kind:     hidden_block_count_x
      - .offset:         196
        .size:           4
        .value_kind:     hidden_block_count_y
      - .offset:         200
        .size:           4
        .value_kind:     hidden_block_count_z
      - .offset:         204
        .size:           2
        .value_kind:     hidden_group_size_x
      - .offset:         206
        .size:           2
        .value_kind:     hidden_group_size_y
      - .offset:         208
        .size:           2
        .value_kind:     hidden_group_size_z
      - .offset:         210
        .size:           2
        .value_kind:     hidden_remainder_x
      - .offset:         212
        .size:           2
        .value_kind:     hidden_remainder_y
      - .offset:         214
        .size:           2
        .value_kind:     hidden_remainder_z
      - .offset:         232
        .size:           8
        .value_kind:     hidden_global_offset_x
      - .offset:         240
        .size:           8
        .value_kind:     hidden_global_offset_y
      - .offset:         248
        .size:           8
        .value_kind:     hidden_global_offset_z
      - .offset:         256
        .size:           2
        .value_kind:     hidden_grid_dims
    .group_segment_fixed_size: 0
    .kernarg_segment_align: 8
    .kernarg_segment_size: 448
    .language:       OpenCL C
    .language_version:
      - 2
      - 0
    .max_flat_workgroup_size: 1024
    .name:           _ZL19k_bin_bcast_unravelIXadL_ZL6op_subffEE6__halfffJPKfEEvPKT0_PKT1_PT2_15HIP_vector_typeIjLj3EESC_SC_jSC_SC_SC_SC_SC_SC_iiiiiiiiiiiDpT3_
    .private_segment_fixed_size: 0
    .sgpr_count:     32
    .sgpr_spill_count: 0
    .symbol:         _ZL19k_bin_bcast_unravelIXadL_ZL6op_subffEE6__halfffJPKfEEvPKT0_PKT1_PT2_15HIP_vector_typeIjLj3EESC_SC_jSC_SC_SC_SC_SC_SC_iiiiiiiiiiiDpT3_.kd
    .uniform_work_group_size: 1
    .uses_dynamic_stack: false
    .vgpr_count:     11
    .vgpr_spill_count: 0
    .wavefront_size: 64
  - .args:
      - .address_space:  global
        .offset:         0
        .size:           8
        .value_kind:     global_buffer
      - .address_space:  global
        .offset:         8
        .size:           8
        .value_kind:     global_buffer
      - .address_space:  global
        .offset:         16
        .size:           8
        .value_kind:     global_buffer
      - .offset:         24
        .size:           4
        .value_kind:     by_value
      - .offset:         28
        .size:           4
        .value_kind:     by_value
      - .offset:         32
        .size:           4
        .value_kind:     by_value
      - .offset:         36
        .size:           12
        .value_kind:     by_value
      - .offset:         48
        .size:           12
        .value_kind:     by_value
      - .offset:         60
        .size:           12
        .value_kind:     by_value
      - .offset:         72
        .size:           12
        .value_kind:     by_value
      - .offset:         84
        .size:           12
        .value_kind:     by_value
      - .offset:         96
        .size:           4
        .value_kind:     by_value
      - .offset:         100
        .size:           4
        .value_kind:     by_value
      - .offset:         104
        .size:           4
        .value_kind:     by_value
      - .offset:         108
        .size:           4
        .value_kind:     by_value
      - .offset:         112
        .size:           4
        .value_kind:     by_value
      - .offset:         116
        .size:           4
        .value_kind:     by_value
      - .offset:         120
        .size:           4
        .value_kind:     by_value
      - .offset:         124
        .size:           4
        .value_kind:     by_value
      - .offset:         128
        .size:           4
        .value_kind:     by_value
      - .offset:         132
        .size:           4
        .value_kind:     by_value
      - .offset:         136
        .size:           4
        .value_kind:     by_value
      - .address_space:  global
        .offset:         144
        .size:           8
        .value_kind:     global_buffer
      - .offset:         152
        .size:           4
        .value_kind:     hidden_block_count_x
      - .offset:         156
        .size:           4
        .value_kind:     hidden_block_count_y
      - .offset:         160
        .size:           4
        .value_kind:     hidden_block_count_z
      - .offset:         164
        .size:           2
        .value_kind:     hidden_group_size_x
      - .offset:         166
        .size:           2
        .value_kind:     hidden_group_size_y
      - .offset:         168
        .size:           2
        .value_kind:     hidden_group_size_z
      - .offset:         170
        .size:           2
        .value_kind:     hidden_remainder_x
      - .offset:         172
        .size:           2
        .value_kind:     hidden_remainder_y
      - .offset:         174
        .size:           2
        .value_kind:     hidden_remainder_z
      - .offset:         192
        .size:           8
        .value_kind:     hidden_global_offset_x
      - .offset:         200
        .size:           8
        .value_kind:     hidden_global_offset_y
      - .offset:         208
        .size:           8
        .value_kind:     hidden_global_offset_z
      - .offset:         216
        .size:           2
        .value_kind:     hidden_grid_dims
    .group_segment_fixed_size: 0
    .kernarg_segment_align: 8
    .kernarg_segment_size: 408
    .language:       OpenCL C
    .language_version:
      - 2
      - 0
    .max_flat_workgroup_size: 1024
    .name:           _ZL11k_bin_bcastIXadL_ZL6op_subffEE6__halfffJPKfEEvPKT0_PKT1_PT2_iii15HIP_vector_typeIjLj3EESC_SC_SC_SC_iiiiiiiiiiiDpT3_
    .private_segment_fixed_size: 0
    .sgpr_count:     48
    .sgpr_spill_count: 0
    .symbol:         _ZL11k_bin_bcastIXadL_ZL6op_subffEE6__halfffJPKfEEvPKT0_PKT1_PT2_iii15HIP_vector_typeIjLj3EESC_SC_SC_SC_iiiiiiiiiiiDpT3_.kd
    .uniform_work_group_size: 1
    .uses_dynamic_stack: false
    .vgpr_count:     14
    .vgpr_spill_count: 0
    .wavefront_size: 64
  - .args:
      - .address_space:  global
        .offset:         0
        .size:           8
        .value_kind:     global_buffer
      - .address_space:  global
        .offset:         8
        .size:           8
        .value_kind:     global_buffer
      - .address_space:  global
        .offset:         16
        .size:           8
        .value_kind:     global_buffer
      - .offset:         24
        .size:           12
        .value_kind:     by_value
      - .offset:         36
        .size:           12
        .value_kind:     by_value
      - .offset:         48
        .size:           12
        .value_kind:     by_value
      - .offset:         60
        .size:           4
        .value_kind:     by_value
      - .offset:         64
        .size:           12
        .value_kind:     by_value
      - .offset:         76
        .size:           12
        .value_kind:     by_value
      - .offset:         88
        .size:           12
        .value_kind:     by_value
      - .offset:         100
        .size:           12
        .value_kind:     by_value
      - .offset:         112
        .size:           12
        .value_kind:     by_value
      - .offset:         124
        .size:           12
        .value_kind:     by_value
      - .offset:         136
        .size:           4
        .value_kind:     by_value
      - .offset:         140
        .size:           4
        .value_kind:     by_value
      - .offset:         144
        .size:           4
        .value_kind:     by_value
      - .offset:         148
        .size:           4
        .value_kind:     by_value
      - .offset:         152
        .size:           4
        .value_kind:     by_value
      - .offset:         156
        .size:           4
        .value_kind:     by_value
      - .offset:         160
        .size:           4
        .value_kind:     by_value
      - .offset:         164
        .size:           4
        .value_kind:     by_value
      - .offset:         168
        .size:           4
        .value_kind:     by_value
      - .offset:         172
        .size:           4
        .value_kind:     by_value
      - .offset:         176
        .size:           4
        .value_kind:     by_value
      - .address_space:  global
        .offset:         184
        .size:           8
        .value_kind:     global_buffer
      - .offset:         192
        .size:           4
        .value_kind:     hidden_block_count_x
      - .offset:         196
        .size:           4
        .value_kind:     hidden_block_count_y
      - .offset:         200
        .size:           4
        .value_kind:     hidden_block_count_z
      - .offset:         204
        .size:           2
        .value_kind:     hidden_group_size_x
      - .offset:         206
        .size:           2
        .value_kind:     hidden_group_size_y
      - .offset:         208
        .size:           2
        .value_kind:     hidden_group_size_z
      - .offset:         210
        .size:           2
        .value_kind:     hidden_remainder_x
      - .offset:         212
        .size:           2
        .value_kind:     hidden_remainder_y
      - .offset:         214
        .size:           2
        .value_kind:     hidden_remainder_z
      - .offset:         232
        .size:           8
        .value_kind:     hidden_global_offset_x
      - .offset:         240
        .size:           8
        .value_kind:     hidden_global_offset_y
      - .offset:         248
        .size:           8
        .value_kind:     hidden_global_offset_z
      - .offset:         256
        .size:           2
        .value_kind:     hidden_grid_dims
    .group_segment_fixed_size: 0
    .kernarg_segment_align: 8
    .kernarg_segment_size: 448
    .language:       OpenCL C
    .language_version:
      - 2
      - 0
    .max_flat_workgroup_size: 1024
    .name:           _ZL19k_bin_bcast_unravelIXadL_ZL6op_mulffEEfffJPKfEEvPKT0_PKT1_PT2_15HIP_vector_typeIjLj3EESB_SB_jSB_SB_SB_SB_SB_SB_iiiiiiiiiiiDpT3_
    .private_segment_fixed_size: 0
    .sgpr_count:     32
    .sgpr_spill_count: 0
    .symbol:         _ZL19k_bin_bcast_unravelIXadL_ZL6op_mulffEEfffJPKfEEvPKT0_PKT1_PT2_15HIP_vector_typeIjLj3EESB_SB_jSB_SB_SB_SB_SB_SB_iiiiiiiiiiiDpT3_.kd
    .uniform_work_group_size: 1
    .uses_dynamic_stack: false
    .vgpr_count:     11
    .vgpr_spill_count: 0
    .wavefront_size: 64
  - .args:
      - .address_space:  global
        .offset:         0
        .size:           8
        .value_kind:     global_buffer
      - .address_space:  global
        .offset:         8
        .size:           8
        .value_kind:     global_buffer
      - .address_space:  global
        .offset:         16
        .size:           8
        .value_kind:     global_buffer
      - .offset:         24
        .size:           4
        .value_kind:     by_value
      - .offset:         28
        .size:           4
        .value_kind:     by_value
      - .offset:         32
        .size:           4
        .value_kind:     by_value
      - .offset:         36
        .size:           12
        .value_kind:     by_value
      - .offset:         48
        .size:           12
        .value_kind:     by_value
      - .offset:         60
        .size:           12
        .value_kind:     by_value
      - .offset:         72
        .size:           12
        .value_kind:     by_value
      - .offset:         84
        .size:           12
        .value_kind:     by_value
      - .offset:         96
        .size:           4
        .value_kind:     by_value
      - .offset:         100
        .size:           4
        .value_kind:     by_value
      - .offset:         104
        .size:           4
        .value_kind:     by_value
      - .offset:         108
        .size:           4
        .value_kind:     by_value
      - .offset:         112
        .size:           4
        .value_kind:     by_value
      - .offset:         116
        .size:           4
        .value_kind:     by_value
      - .offset:         120
        .size:           4
        .value_kind:     by_value
      - .offset:         124
        .size:           4
        .value_kind:     by_value
      - .offset:         128
        .size:           4
        .value_kind:     by_value
      - .offset:         132
        .size:           4
        .value_kind:     by_value
      - .offset:         136
        .size:           4
        .value_kind:     by_value
      - .address_space:  global
        .offset:         144
        .size:           8
        .value_kind:     global_buffer
      - .offset:         152
        .size:           4
        .value_kind:     hidden_block_count_x
      - .offset:         156
        .size:           4
        .value_kind:     hidden_block_count_y
      - .offset:         160
        .size:           4
        .value_kind:     hidden_block_count_z
      - .offset:         164
        .size:           2
        .value_kind:     hidden_group_size_x
      - .offset:         166
        .size:           2
        .value_kind:     hidden_group_size_y
      - .offset:         168
        .size:           2
        .value_kind:     hidden_group_size_z
      - .offset:         170
        .size:           2
        .value_kind:     hidden_remainder_x
      - .offset:         172
        .size:           2
        .value_kind:     hidden_remainder_y
      - .offset:         174
        .size:           2
        .value_kind:     hidden_remainder_z
      - .offset:         192
        .size:           8
        .value_kind:     hidden_global_offset_x
      - .offset:         200
        .size:           8
        .value_kind:     hidden_global_offset_y
      - .offset:         208
        .size:           8
        .value_kind:     hidden_global_offset_z
      - .offset:         216
        .size:           2
        .value_kind:     hidden_grid_dims
    .group_segment_fixed_size: 0
    .kernarg_segment_align: 8
    .kernarg_segment_size: 408
    .language:       OpenCL C
    .language_version:
      - 2
      - 0
    .max_flat_workgroup_size: 1024
    .name:           _ZL11k_bin_bcastIXadL_ZL6op_mulffEEfffJPKfEEvPKT0_PKT1_PT2_iii15HIP_vector_typeIjLj3EESB_SB_SB_SB_iiiiiiiiiiiDpT3_
    .private_segment_fixed_size: 0
    .sgpr_count:     48
    .sgpr_spill_count: 0
    .symbol:         _ZL11k_bin_bcastIXadL_ZL6op_mulffEEfffJPKfEEvPKT0_PKT1_PT2_iii15HIP_vector_typeIjLj3EESB_SB_SB_SB_iiiiiiiiiiiDpT3_.kd
    .uniform_work_group_size: 1
    .uses_dynamic_stack: false
    .vgpr_count:     14
    .vgpr_spill_count: 0
    .wavefront_size: 64
  - .args:
      - .address_space:  global
        .offset:         0
        .size:           8
        .value_kind:     global_buffer
      - .address_space:  global
        .offset:         8
        .size:           8
        .value_kind:     global_buffer
      - .address_space:  global
        .offset:         16
        .size:           8
        .value_kind:     global_buffer
      - .offset:         24
        .size:           12
        .value_kind:     by_value
      - .offset:         36
        .size:           12
        .value_kind:     by_value
      - .offset:         48
        .size:           12
        .value_kind:     by_value
      - .offset:         60
        .size:           4
        .value_kind:     by_value
      - .offset:         64
        .size:           12
        .value_kind:     by_value
      - .offset:         76
        .size:           12
        .value_kind:     by_value
      - .offset:         88
        .size:           12
        .value_kind:     by_value
      - .offset:         100
        .size:           12
        .value_kind:     by_value
      - .offset:         112
        .size:           12
        .value_kind:     by_value
      - .offset:         124
        .size:           12
        .value_kind:     by_value
      - .offset:         136
        .size:           4
        .value_kind:     by_value
      - .offset:         140
        .size:           4
        .value_kind:     by_value
      - .offset:         144
        .size:           4
        .value_kind:     by_value
      - .offset:         148
        .size:           4
        .value_kind:     by_value
      - .offset:         152
        .size:           4
        .value_kind:     by_value
      - .offset:         156
        .size:           4
        .value_kind:     by_value
      - .offset:         160
        .size:           4
        .value_kind:     by_value
      - .offset:         164
        .size:           4
        .value_kind:     by_value
      - .offset:         168
        .size:           4
        .value_kind:     by_value
      - .offset:         172
        .size:           4
        .value_kind:     by_value
      - .offset:         176
        .size:           4
        .value_kind:     by_value
      - .address_space:  global
        .offset:         184
        .size:           8
        .value_kind:     global_buffer
      - .offset:         192
        .size:           4
        .value_kind:     hidden_block_count_x
      - .offset:         196
        .size:           4
        .value_kind:     hidden_block_count_y
      - .offset:         200
        .size:           4
        .value_kind:     hidden_block_count_z
      - .offset:         204
        .size:           2
        .value_kind:     hidden_group_size_x
      - .offset:         206
        .size:           2
        .value_kind:     hidden_group_size_y
      - .offset:         208
        .size:           2
        .value_kind:     hidden_group_size_z
      - .offset:         210
        .size:           2
        .value_kind:     hidden_remainder_x
      - .offset:         212
        .size:           2
        .value_kind:     hidden_remainder_y
      - .offset:         214
        .size:           2
        .value_kind:     hidden_remainder_z
      - .offset:         232
        .size:           8
        .value_kind:     hidden_global_offset_x
      - .offset:         240
        .size:           8
        .value_kind:     hidden_global_offset_y
      - .offset:         248
        .size:           8
        .value_kind:     hidden_global_offset_z
      - .offset:         256
        .size:           2
        .value_kind:     hidden_grid_dims
    .group_segment_fixed_size: 0
    .kernarg_segment_align: 8
    .kernarg_segment_size: 448
    .language:       OpenCL C
    .language_version:
      - 2
      - 0
    .max_flat_workgroup_size: 1024
    .name:           _ZL19k_bin_bcast_unravelIXadL_ZL6op_mulffEE6__halfS0_S0_JPKS0_EEvPKT0_PKT1_PT2_15HIP_vector_typeIjLj3EESC_SC_jSC_SC_SC_SC_SC_SC_iiiiiiiiiiiDpT3_
    .private_segment_fixed_size: 0
    .sgpr_count:     32
    .sgpr_spill_count: 0
    .symbol:         _ZL19k_bin_bcast_unravelIXadL_ZL6op_mulffEE6__halfS0_S0_JPKS0_EEvPKT0_PKT1_PT2_15HIP_vector_typeIjLj3EESC_SC_jSC_SC_SC_SC_SC_SC_iiiiiiiiiiiDpT3_.kd
    .uniform_work_group_size: 1
    .uses_dynamic_stack: false
    .vgpr_count:     11
    .vgpr_spill_count: 0
    .wavefront_size: 64
  - .args:
      - .address_space:  global
        .offset:         0
        .size:           8
        .value_kind:     global_buffer
      - .address_space:  global
        .offset:         8
        .size:           8
        .value_kind:     global_buffer
      - .address_space:  global
        .offset:         16
        .size:           8
        .value_kind:     global_buffer
      - .offset:         24
        .size:           4
        .value_kind:     by_value
      - .offset:         28
        .size:           4
        .value_kind:     by_value
      - .offset:         32
        .size:           4
        .value_kind:     by_value
      - .offset:         36
        .size:           12
        .value_kind:     by_value
      - .offset:         48
        .size:           12
        .value_kind:     by_value
      - .offset:         60
        .size:           12
        .value_kind:     by_value
      - .offset:         72
        .size:           12
        .value_kind:     by_value
      - .offset:         84
        .size:           12
        .value_kind:     by_value
      - .offset:         96
        .size:           4
        .value_kind:     by_value
      - .offset:         100
        .size:           4
        .value_kind:     by_value
      - .offset:         104
        .size:           4
        .value_kind:     by_value
      - .offset:         108
        .size:           4
        .value_kind:     by_value
      - .offset:         112
        .size:           4
        .value_kind:     by_value
      - .offset:         116
        .size:           4
        .value_kind:     by_value
      - .offset:         120
        .size:           4
        .value_kind:     by_value
      - .offset:         124
        .size:           4
        .value_kind:     by_value
      - .offset:         128
        .size:           4
        .value_kind:     by_value
      - .offset:         132
        .size:           4
        .value_kind:     by_value
      - .offset:         136
        .size:           4
        .value_kind:     by_value
      - .address_space:  global
        .offset:         144
        .size:           8
        .value_kind:     global_buffer
      - .offset:         152
        .size:           4
        .value_kind:     hidden_block_count_x
      - .offset:         156
        .size:           4
        .value_kind:     hidden_block_count_y
      - .offset:         160
        .size:           4
        .value_kind:     hidden_block_count_z
      - .offset:         164
        .size:           2
        .value_kind:     hidden_group_size_x
      - .offset:         166
        .size:           2
        .value_kind:     hidden_group_size_y
      - .offset:         168
        .size:           2
        .value_kind:     hidden_group_size_z
      - .offset:         170
        .size:           2
        .value_kind:     hidden_remainder_x
      - .offset:         172
        .size:           2
        .value_kind:     hidden_remainder_y
      - .offset:         174
        .size:           2
        .value_kind:     hidden_remainder_z
      - .offset:         192
        .size:           8
        .value_kind:     hidden_global_offset_x
      - .offset:         200
        .size:           8
        .value_kind:     hidden_global_offset_y
      - .offset:         208
        .size:           8
        .value_kind:     hidden_global_offset_z
      - .offset:         216
        .size:           2
        .value_kind:     hidden_grid_dims
    .group_segment_fixed_size: 0
    .kernarg_segment_align: 8
    .kernarg_segment_size: 408
    .language:       OpenCL C
    .language_version:
      - 2
      - 0
    .max_flat_workgroup_size: 1024
    .name:           _ZL11k_bin_bcastIXadL_ZL6op_mulffEE6__halfS0_S0_JPKS0_EEvPKT0_PKT1_PT2_iii15HIP_vector_typeIjLj3EESC_SC_SC_SC_iiiiiiiiiiiDpT3_
    .private_segment_fixed_size: 0
    .sgpr_count:     48
    .sgpr_spill_count: 0
    .symbol:         _ZL11k_bin_bcastIXadL_ZL6op_mulffEE6__halfS0_S0_JPKS0_EEvPKT0_PKT1_PT2_iii15HIP_vector_typeIjLj3EESC_SC_SC_SC_iiiiiiiiiiiDpT3_.kd
    .uniform_work_group_size: 1
    .uses_dynamic_stack: false
    .vgpr_count:     14
    .vgpr_spill_count: 0
    .wavefront_size: 64
  - .args:
      - .address_space:  global
        .offset:         0
        .size:           8
        .value_kind:     global_buffer
      - .address_space:  global
        .offset:         8
        .size:           8
        .value_kind:     global_buffer
      - .address_space:  global
        .offset:         16
        .size:           8
        .value_kind:     global_buffer
      - .offset:         24
        .size:           12
        .value_kind:     by_value
      - .offset:         36
        .size:           12
        .value_kind:     by_value
      - .offset:         48
        .size:           12
        .value_kind:     by_value
      - .offset:         60
        .size:           4
        .value_kind:     by_value
      - .offset:         64
        .size:           12
        .value_kind:     by_value
      - .offset:         76
        .size:           12
        .value_kind:     by_value
      - .offset:         88
        .size:           12
        .value_kind:     by_value
      - .offset:         100
        .size:           12
        .value_kind:     by_value
      - .offset:         112
        .size:           12
        .value_kind:     by_value
      - .offset:         124
        .size:           12
        .value_kind:     by_value
      - .offset:         136
        .size:           4
        .value_kind:     by_value
      - .offset:         140
        .size:           4
        .value_kind:     by_value
      - .offset:         144
        .size:           4
        .value_kind:     by_value
      - .offset:         148
        .size:           4
        .value_kind:     by_value
      - .offset:         152
        .size:           4
        .value_kind:     by_value
      - .offset:         156
        .size:           4
        .value_kind:     by_value
      - .offset:         160
        .size:           4
        .value_kind:     by_value
      - .offset:         164
        .size:           4
        .value_kind:     by_value
      - .offset:         168
        .size:           4
        .value_kind:     by_value
      - .offset:         172
        .size:           4
        .value_kind:     by_value
      - .offset:         176
        .size:           4
        .value_kind:     by_value
      - .address_space:  global
        .offset:         184
        .size:           8
        .value_kind:     global_buffer
      - .offset:         192
        .size:           4
        .value_kind:     hidden_block_count_x
      - .offset:         196
        .size:           4
        .value_kind:     hidden_block_count_y
      - .offset:         200
        .size:           4
        .value_kind:     hidden_block_count_z
      - .offset:         204
        .size:           2
        .value_kind:     hidden_group_size_x
      - .offset:         206
        .size:           2
        .value_kind:     hidden_group_size_y
      - .offset:         208
        .size:           2
        .value_kind:     hidden_group_size_z
      - .offset:         210
        .size:           2
        .value_kind:     hidden_remainder_x
      - .offset:         212
        .size:           2
        .value_kind:     hidden_remainder_y
      - .offset:         214
        .size:           2
        .value_kind:     hidden_remainder_z
      - .offset:         232
        .size:           8
        .value_kind:     hidden_global_offset_x
      - .offset:         240
        .size:           8
        .value_kind:     hidden_global_offset_y
      - .offset:         248
        .size:           8
        .value_kind:     hidden_global_offset_z
      - .offset:         256
        .size:           2
        .value_kind:     hidden_grid_dims
    .group_segment_fixed_size: 0
    .kernarg_segment_align: 8
    .kernarg_segment_size: 448
    .language:       OpenCL C
    .language_version:
      - 2
      - 0
    .max_flat_workgroup_size: 1024
    .name:           _ZL19k_bin_bcast_unravelIXadL_ZL6op_mulffEE6__halffS0_JPKfEEvPKT0_PKT1_PT2_15HIP_vector_typeIjLj3EESC_SC_jSC_SC_SC_SC_SC_SC_iiiiiiiiiiiDpT3_
    .private_segment_fixed_size: 0
    .sgpr_count:     32
    .sgpr_spill_count: 0
    .symbol:         _ZL19k_bin_bcast_unravelIXadL_ZL6op_mulffEE6__halffS0_JPKfEEvPKT0_PKT1_PT2_15HIP_vector_typeIjLj3EESC_SC_jSC_SC_SC_SC_SC_SC_iiiiiiiiiiiDpT3_.kd
    .uniform_work_group_size: 1
    .uses_dynamic_stack: false
    .vgpr_count:     11
    .vgpr_spill_count: 0
    .wavefront_size: 64
  - .args:
      - .address_space:  global
        .offset:         0
        .size:           8
        .value_kind:     global_buffer
      - .address_space:  global
        .offset:         8
        .size:           8
        .value_kind:     global_buffer
      - .address_space:  global
        .offset:         16
        .size:           8
        .value_kind:     global_buffer
      - .offset:         24
        .size:           4
        .value_kind:     by_value
      - .offset:         28
        .size:           4
        .value_kind:     by_value
      - .offset:         32
        .size:           4
        .value_kind:     by_value
      - .offset:         36
        .size:           12
        .value_kind:     by_value
      - .offset:         48
        .size:           12
        .value_kind:     by_value
      - .offset:         60
        .size:           12
        .value_kind:     by_value
      - .offset:         72
        .size:           12
        .value_kind:     by_value
      - .offset:         84
        .size:           12
        .value_kind:     by_value
      - .offset:         96
        .size:           4
        .value_kind:     by_value
      - .offset:         100
        .size:           4
        .value_kind:     by_value
      - .offset:         104
        .size:           4
        .value_kind:     by_value
      - .offset:         108
        .size:           4
        .value_kind:     by_value
      - .offset:         112
        .size:           4
        .value_kind:     by_value
      - .offset:         116
        .size:           4
        .value_kind:     by_value
      - .offset:         120
        .size:           4
        .value_kind:     by_value
      - .offset:         124
        .size:           4
        .value_kind:     by_value
      - .offset:         128
        .size:           4
        .value_kind:     by_value
      - .offset:         132
        .size:           4
        .value_kind:     by_value
      - .offset:         136
        .size:           4
        .value_kind:     by_value
      - .address_space:  global
        .offset:         144
        .size:           8
        .value_kind:     global_buffer
      - .offset:         152
        .size:           4
        .value_kind:     hidden_block_count_x
      - .offset:         156
        .size:           4
        .value_kind:     hidden_block_count_y
      - .offset:         160
        .size:           4
        .value_kind:     hidden_block_count_z
      - .offset:         164
        .size:           2
        .value_kind:     hidden_group_size_x
      - .offset:         166
        .size:           2
        .value_kind:     hidden_group_size_y
      - .offset:         168
        .size:           2
        .value_kind:     hidden_group_size_z
      - .offset:         170
        .size:           2
        .value_kind:     hidden_remainder_x
      - .offset:         172
        .size:           2
        .value_kind:     hidden_remainder_y
      - .offset:         174
        .size:           2
        .value_kind:     hidden_remainder_z
      - .offset:         192
        .size:           8
        .value_kind:     hidden_global_offset_x
      - .offset:         200
        .size:           8
        .value_kind:     hidden_global_offset_y
      - .offset:         208
        .size:           8
        .value_kind:     hidden_global_offset_z
      - .offset:         216
        .size:           2
        .value_kind:     hidden_grid_dims
    .group_segment_fixed_size: 0
    .kernarg_segment_align: 8
    .kernarg_segment_size: 408
    .language:       OpenCL C
    .language_version:
      - 2
      - 0
    .max_flat_workgroup_size: 1024
    .name:           _ZL11k_bin_bcastIXadL_ZL6op_mulffEE6__halffS0_JPKfEEvPKT0_PKT1_PT2_iii15HIP_vector_typeIjLj3EESC_SC_SC_SC_iiiiiiiiiiiDpT3_
    .private_segment_fixed_size: 0
    .sgpr_count:     48
    .sgpr_spill_count: 0
    .symbol:         _ZL11k_bin_bcastIXadL_ZL6op_mulffEE6__halffS0_JPKfEEvPKT0_PKT1_PT2_iii15HIP_vector_typeIjLj3EESC_SC_SC_SC_iiiiiiiiiiiDpT3_.kd
    .uniform_work_group_size: 1
    .uses_dynamic_stack: false
    .vgpr_count:     14
    .vgpr_spill_count: 0
    .wavefront_size: 64
  - .args:
      - .address_space:  global
        .offset:         0
        .size:           8
        .value_kind:     global_buffer
      - .address_space:  global
        .offset:         8
        .size:           8
        .value_kind:     global_buffer
      - .address_space:  global
        .offset:         16
        .size:           8
        .value_kind:     global_buffer
      - .offset:         24
        .size:           12
        .value_kind:     by_value
      - .offset:         36
        .size:           12
        .value_kind:     by_value
      - .offset:         48
        .size:           12
        .value_kind:     by_value
      - .offset:         60
        .size:           4
        .value_kind:     by_value
      - .offset:         64
        .size:           12
        .value_kind:     by_value
      - .offset:         76
        .size:           12
        .value_kind:     by_value
      - .offset:         88
        .size:           12
        .value_kind:     by_value
      - .offset:         100
        .size:           12
        .value_kind:     by_value
      - .offset:         112
        .size:           12
        .value_kind:     by_value
      - .offset:         124
        .size:           12
        .value_kind:     by_value
      - .offset:         136
        .size:           4
        .value_kind:     by_value
      - .offset:         140
        .size:           4
        .value_kind:     by_value
      - .offset:         144
        .size:           4
        .value_kind:     by_value
      - .offset:         148
        .size:           4
        .value_kind:     by_value
      - .offset:         152
        .size:           4
        .value_kind:     by_value
      - .offset:         156
        .size:           4
        .value_kind:     by_value
      - .offset:         160
        .size:           4
        .value_kind:     by_value
      - .offset:         164
        .size:           4
        .value_kind:     by_value
      - .offset:         168
        .size:           4
        .value_kind:     by_value
      - .offset:         172
        .size:           4
        .value_kind:     by_value
      - .offset:         176
        .size:           4
        .value_kind:     by_value
      - .address_space:  global
        .offset:         184
        .size:           8
        .value_kind:     global_buffer
      - .offset:         192
        .size:           4
        .value_kind:     hidden_block_count_x
      - .offset:         196
        .size:           4
        .value_kind:     hidden_block_count_y
      - .offset:         200
        .size:           4
        .value_kind:     hidden_block_count_z
      - .offset:         204
        .size:           2
        .value_kind:     hidden_group_size_x
      - .offset:         206
        .size:           2
        .value_kind:     hidden_group_size_y
      - .offset:         208
        .size:           2
        .value_kind:     hidden_group_size_z
      - .offset:         210
        .size:           2
        .value_kind:     hidden_remainder_x
      - .offset:         212
        .size:           2
        .value_kind:     hidden_remainder_y
      - .offset:         214
        .size:           2
        .value_kind:     hidden_remainder_z
      - .offset:         232
        .size:           8
        .value_kind:     hidden_global_offset_x
      - .offset:         240
        .size:           8
        .value_kind:     hidden_global_offset_y
      - .offset:         248
        .size:           8
        .value_kind:     hidden_global_offset_z
      - .offset:         256
        .size:           2
        .value_kind:     hidden_grid_dims
    .group_segment_fixed_size: 0
    .kernarg_segment_align: 8
    .kernarg_segment_size: 448
    .language:       OpenCL C
    .language_version:
      - 2
      - 0
    .max_flat_workgroup_size: 1024
    .name:           _ZL19k_bin_bcast_unravelIXadL_ZL6op_mulffEE6__halfffJPKfEEvPKT0_PKT1_PT2_15HIP_vector_typeIjLj3EESC_SC_jSC_SC_SC_SC_SC_SC_iiiiiiiiiiiDpT3_
    .private_segment_fixed_size: 0
    .sgpr_count:     32
    .sgpr_spill_count: 0
    .symbol:         _ZL19k_bin_bcast_unravelIXadL_ZL6op_mulffEE6__halfffJPKfEEvPKT0_PKT1_PT2_15HIP_vector_typeIjLj3EESC_SC_jSC_SC_SC_SC_SC_SC_iiiiiiiiiiiDpT3_.kd
    .uniform_work_group_size: 1
    .uses_dynamic_stack: false
    .vgpr_count:     11
    .vgpr_spill_count: 0
    .wavefront_size: 64
  - .args:
      - .address_space:  global
        .offset:         0
        .size:           8
        .value_kind:     global_buffer
      - .address_space:  global
        .offset:         8
        .size:           8
        .value_kind:     global_buffer
      - .address_space:  global
        .offset:         16
        .size:           8
        .value_kind:     global_buffer
      - .offset:         24
        .size:           4
        .value_kind:     by_value
      - .offset:         28
        .size:           4
        .value_kind:     by_value
      - .offset:         32
        .size:           4
        .value_kind:     by_value
      - .offset:         36
        .size:           12
        .value_kind:     by_value
      - .offset:         48
        .size:           12
        .value_kind:     by_value
      - .offset:         60
        .size:           12
        .value_kind:     by_value
      - .offset:         72
        .size:           12
        .value_kind:     by_value
      - .offset:         84
        .size:           12
        .value_kind:     by_value
      - .offset:         96
        .size:           4
        .value_kind:     by_value
      - .offset:         100
        .size:           4
        .value_kind:     by_value
      - .offset:         104
        .size:           4
        .value_kind:     by_value
      - .offset:         108
        .size:           4
        .value_kind:     by_value
      - .offset:         112
        .size:           4
        .value_kind:     by_value
      - .offset:         116
        .size:           4
        .value_kind:     by_value
      - .offset:         120
        .size:           4
        .value_kind:     by_value
      - .offset:         124
        .size:           4
        .value_kind:     by_value
      - .offset:         128
        .size:           4
        .value_kind:     by_value
      - .offset:         132
        .size:           4
        .value_kind:     by_value
      - .offset:         136
        .size:           4
        .value_kind:     by_value
      - .address_space:  global
        .offset:         144
        .size:           8
        .value_kind:     global_buffer
      - .offset:         152
        .size:           4
        .value_kind:     hidden_block_count_x
      - .offset:         156
        .size:           4
        .value_kind:     hidden_block_count_y
      - .offset:         160
        .size:           4
        .value_kind:     hidden_block_count_z
      - .offset:         164
        .size:           2
        .value_kind:     hidden_group_size_x
      - .offset:         166
        .size:           2
        .value_kind:     hidden_group_size_y
      - .offset:         168
        .size:           2
        .value_kind:     hidden_group_size_z
      - .offset:         170
        .size:           2
        .value_kind:     hidden_remainder_x
      - .offset:         172
        .size:           2
        .value_kind:     hidden_remainder_y
      - .offset:         174
        .size:           2
        .value_kind:     hidden_remainder_z
      - .offset:         192
        .size:           8
        .value_kind:     hidden_global_offset_x
      - .offset:         200
        .size:           8
        .value_kind:     hidden_global_offset_y
      - .offset:         208
        .size:           8
        .value_kind:     hidden_global_offset_z
      - .offset:         216
        .size:           2
        .value_kind:     hidden_grid_dims
    .group_segment_fixed_size: 0
    .kernarg_segment_align: 8
    .kernarg_segment_size: 408
    .language:       OpenCL C
    .language_version:
      - 2
      - 0
    .max_flat_workgroup_size: 1024
    .name:           _ZL11k_bin_bcastIXadL_ZL6op_mulffEE6__halfffJPKfEEvPKT0_PKT1_PT2_iii15HIP_vector_typeIjLj3EESC_SC_SC_SC_iiiiiiiiiiiDpT3_
    .private_segment_fixed_size: 0
    .sgpr_count:     48
    .sgpr_spill_count: 0
    .symbol:         _ZL11k_bin_bcastIXadL_ZL6op_mulffEE6__halfffJPKfEEvPKT0_PKT1_PT2_iii15HIP_vector_typeIjLj3EESC_SC_SC_SC_iiiiiiiiiiiDpT3_.kd
    .uniform_work_group_size: 1
    .uses_dynamic_stack: false
    .vgpr_count:     14
    .vgpr_spill_count: 0
    .wavefront_size: 64
  - .args:
      - .address_space:  global
        .offset:         0
        .size:           8
        .value_kind:     global_buffer
      - .address_space:  global
        .offset:         8
        .size:           8
        .value_kind:     global_buffer
      - .address_space:  global
        .offset:         16
        .size:           8
        .value_kind:     global_buffer
      - .offset:         24
        .size:           12
        .value_kind:     by_value
      - .offset:         36
        .size:           12
        .value_kind:     by_value
      - .offset:         48
        .size:           12
        .value_kind:     by_value
      - .offset:         60
        .size:           4
        .value_kind:     by_value
      - .offset:         64
        .size:           12
        .value_kind:     by_value
      - .offset:         76
        .size:           12
        .value_kind:     by_value
      - .offset:         88
        .size:           12
        .value_kind:     by_value
      - .offset:         100
        .size:           12
        .value_kind:     by_value
      - .offset:         112
        .size:           12
        .value_kind:     by_value
      - .offset:         124
        .size:           12
        .value_kind:     by_value
      - .offset:         136
        .size:           4
        .value_kind:     by_value
      - .offset:         140
        .size:           4
        .value_kind:     by_value
      - .offset:         144
        .size:           4
        .value_kind:     by_value
      - .offset:         148
        .size:           4
        .value_kind:     by_value
      - .offset:         152
        .size:           4
        .value_kind:     by_value
      - .offset:         156
        .size:           4
        .value_kind:     by_value
      - .offset:         160
        .size:           4
        .value_kind:     by_value
      - .offset:         164
        .size:           4
        .value_kind:     by_value
      - .offset:         168
        .size:           4
        .value_kind:     by_value
      - .offset:         172
        .size:           4
        .value_kind:     by_value
      - .offset:         176
        .size:           4
        .value_kind:     by_value
      - .address_space:  global
        .offset:         184
        .size:           8
        .value_kind:     global_buffer
      - .offset:         192
        .size:           4
        .value_kind:     hidden_block_count_x
      - .offset:         196
        .size:           4
        .value_kind:     hidden_block_count_y
      - .offset:         200
        .size:           4
        .value_kind:     hidden_block_count_z
      - .offset:         204
        .size:           2
        .value_kind:     hidden_group_size_x
      - .offset:         206
        .size:           2
        .value_kind:     hidden_group_size_y
      - .offset:         208
        .size:           2
        .value_kind:     hidden_group_size_z
      - .offset:         210
        .size:           2
        .value_kind:     hidden_remainder_x
      - .offset:         212
        .size:           2
        .value_kind:     hidden_remainder_y
      - .offset:         214
        .size:           2
        .value_kind:     hidden_remainder_z
      - .offset:         232
        .size:           8
        .value_kind:     hidden_global_offset_x
      - .offset:         240
        .size:           8
        .value_kind:     hidden_global_offset_y
      - .offset:         248
        .size:           8
        .value_kind:     hidden_global_offset_z
      - .offset:         256
        .size:           2
        .value_kind:     hidden_grid_dims
    .group_segment_fixed_size: 0
    .kernarg_segment_align: 8
    .kernarg_segment_size: 448
    .language:       OpenCL C
    .language_version:
      - 2
      - 0
    .max_flat_workgroup_size: 1024
    .name:           _ZL19k_bin_bcast_unravelIXadL_ZL6op_divffEEfffJPKfEEvPKT0_PKT1_PT2_15HIP_vector_typeIjLj3EESB_SB_jSB_SB_SB_SB_SB_SB_iiiiiiiiiiiDpT3_
    .private_segment_fixed_size: 0
    .sgpr_count:     32
    .sgpr_spill_count: 0
    .symbol:         _ZL19k_bin_bcast_unravelIXadL_ZL6op_divffEEfffJPKfEEvPKT0_PKT1_PT2_15HIP_vector_typeIjLj3EESB_SB_jSB_SB_SB_SB_SB_SB_iiiiiiiiiiiDpT3_.kd
    .uniform_work_group_size: 1
    .uses_dynamic_stack: false
    .vgpr_count:     12
    .vgpr_spill_count: 0
    .wavefront_size: 64
  - .args:
      - .address_space:  global
        .offset:         0
        .size:           8
        .value_kind:     global_buffer
      - .address_space:  global
        .offset:         8
        .size:           8
        .value_kind:     global_buffer
      - .address_space:  global
        .offset:         16
        .size:           8
        .value_kind:     global_buffer
      - .offset:         24
        .size:           4
        .value_kind:     by_value
      - .offset:         28
        .size:           4
        .value_kind:     by_value
      - .offset:         32
        .size:           4
        .value_kind:     by_value
      - .offset:         36
        .size:           12
        .value_kind:     by_value
      - .offset:         48
        .size:           12
        .value_kind:     by_value
      - .offset:         60
        .size:           12
        .value_kind:     by_value
      - .offset:         72
        .size:           12
        .value_kind:     by_value
      - .offset:         84
        .size:           12
        .value_kind:     by_value
      - .offset:         96
        .size:           4
        .value_kind:     by_value
      - .offset:         100
        .size:           4
        .value_kind:     by_value
      - .offset:         104
        .size:           4
        .value_kind:     by_value
      - .offset:         108
        .size:           4
        .value_kind:     by_value
      - .offset:         112
        .size:           4
        .value_kind:     by_value
      - .offset:         116
        .size:           4
        .value_kind:     by_value
      - .offset:         120
        .size:           4
        .value_kind:     by_value
      - .offset:         124
        .size:           4
        .value_kind:     by_value
      - .offset:         128
        .size:           4
        .value_kind:     by_value
      - .offset:         132
        .size:           4
        .value_kind:     by_value
      - .offset:         136
        .size:           4
        .value_kind:     by_value
      - .address_space:  global
        .offset:         144
        .size:           8
        .value_kind:     global_buffer
      - .offset:         152
        .size:           4
        .value_kind:     hidden_block_count_x
      - .offset:         156
        .size:           4
        .value_kind:     hidden_block_count_y
      - .offset:         160
        .size:           4
        .value_kind:     hidden_block_count_z
      - .offset:         164
        .size:           2
        .value_kind:     hidden_group_size_x
      - .offset:         166
        .size:           2
        .value_kind:     hidden_group_size_y
      - .offset:         168
        .size:           2
        .value_kind:     hidden_group_size_z
      - .offset:         170
        .size:           2
        .value_kind:     hidden_remainder_x
      - .offset:         172
        .size:           2
        .value_kind:     hidden_remainder_y
      - .offset:         174
        .size:           2
        .value_kind:     hidden_remainder_z
      - .offset:         192
        .size:           8
        .value_kind:     hidden_global_offset_x
      - .offset:         200
        .size:           8
        .value_kind:     hidden_global_offset_y
      - .offset:         208
        .size:           8
        .value_kind:     hidden_global_offset_z
      - .offset:         216
        .size:           2
        .value_kind:     hidden_grid_dims
    .group_segment_fixed_size: 0
    .kernarg_segment_align: 8
    .kernarg_segment_size: 408
    .language:       OpenCL C
    .language_version:
      - 2
      - 0
    .max_flat_workgroup_size: 1024
    .name:           _ZL11k_bin_bcastIXadL_ZL6op_divffEEfffJPKfEEvPKT0_PKT1_PT2_iii15HIP_vector_typeIjLj3EESB_SB_SB_SB_iiiiiiiiiiiDpT3_
    .private_segment_fixed_size: 0
    .sgpr_count:     48
    .sgpr_spill_count: 0
    .symbol:         _ZL11k_bin_bcastIXadL_ZL6op_divffEEfffJPKfEEvPKT0_PKT1_PT2_iii15HIP_vector_typeIjLj3EESB_SB_SB_SB_iiiiiiiiiiiDpT3_.kd
    .uniform_work_group_size: 1
    .uses_dynamic_stack: false
    .vgpr_count:     16
    .vgpr_spill_count: 0
    .wavefront_size: 64
  - .args:
      - .address_space:  global
        .offset:         0
        .size:           8
        .value_kind:     global_buffer
      - .address_space:  global
        .offset:         8
        .size:           8
        .value_kind:     global_buffer
      - .address_space:  global
        .offset:         16
        .size:           8
        .value_kind:     global_buffer
      - .offset:         24
        .size:           12
        .value_kind:     by_value
      - .offset:         36
        .size:           12
        .value_kind:     by_value
      - .offset:         48
        .size:           12
        .value_kind:     by_value
      - .offset:         60
        .size:           4
        .value_kind:     by_value
      - .offset:         64
        .size:           12
        .value_kind:     by_value
      - .offset:         76
        .size:           12
        .value_kind:     by_value
      - .offset:         88
        .size:           12
        .value_kind:     by_value
      - .offset:         100
        .size:           12
        .value_kind:     by_value
      - .offset:         112
        .size:           12
        .value_kind:     by_value
      - .offset:         124
        .size:           12
        .value_kind:     by_value
      - .offset:         136
        .size:           4
        .value_kind:     by_value
      - .offset:         140
        .size:           4
        .value_kind:     by_value
      - .offset:         144
        .size:           4
        .value_kind:     by_value
      - .offset:         148
        .size:           4
        .value_kind:     by_value
      - .offset:         152
        .size:           4
        .value_kind:     by_value
      - .offset:         156
        .size:           4
        .value_kind:     by_value
      - .offset:         160
        .size:           4
        .value_kind:     by_value
      - .offset:         164
        .size:           4
        .value_kind:     by_value
      - .offset:         168
        .size:           4
        .value_kind:     by_value
      - .offset:         172
        .size:           4
        .value_kind:     by_value
      - .offset:         176
        .size:           4
        .value_kind:     by_value
      - .address_space:  global
        .offset:         184
        .size:           8
        .value_kind:     global_buffer
      - .offset:         192
        .size:           4
        .value_kind:     hidden_block_count_x
      - .offset:         196
        .size:           4
        .value_kind:     hidden_block_count_y
      - .offset:         200
        .size:           4
        .value_kind:     hidden_block_count_z
      - .offset:         204
        .size:           2
        .value_kind:     hidden_group_size_x
      - .offset:         206
        .size:           2
        .value_kind:     hidden_group_size_y
      - .offset:         208
        .size:           2
        .value_kind:     hidden_group_size_z
      - .offset:         210
        .size:           2
        .value_kind:     hidden_remainder_x
      - .offset:         212
        .size:           2
        .value_kind:     hidden_remainder_y
      - .offset:         214
        .size:           2
        .value_kind:     hidden_remainder_z
      - .offset:         232
        .size:           8
        .value_kind:     hidden_global_offset_x
      - .offset:         240
        .size:           8
        .value_kind:     hidden_global_offset_y
      - .offset:         248
        .size:           8
        .value_kind:     hidden_global_offset_z
      - .offset:         256
        .size:           2
        .value_kind:     hidden_grid_dims
    .group_segment_fixed_size: 0
    .kernarg_segment_align: 8
    .kernarg_segment_size: 448
    .language:       OpenCL C
    .language_version:
      - 2
      - 0
    .max_flat_workgroup_size: 1024
    .name:           _ZL19k_bin_bcast_unravelIXadL_ZL6op_divffEE6__halfS0_S0_JPKS0_EEvPKT0_PKT1_PT2_15HIP_vector_typeIjLj3EESC_SC_jSC_SC_SC_SC_SC_SC_iiiiiiiiiiiDpT3_
    .private_segment_fixed_size: 0
    .sgpr_count:     32
    .sgpr_spill_count: 0
    .symbol:         _ZL19k_bin_bcast_unravelIXadL_ZL6op_divffEE6__halfS0_S0_JPKS0_EEvPKT0_PKT1_PT2_15HIP_vector_typeIjLj3EESC_SC_jSC_SC_SC_SC_SC_SC_iiiiiiiiiiiDpT3_.kd
    .uniform_work_group_size: 1
    .uses_dynamic_stack: false
    .vgpr_count:     12
    .vgpr_spill_count: 0
    .wavefront_size: 64
  - .args:
      - .address_space:  global
        .offset:         0
        .size:           8
        .value_kind:     global_buffer
      - .address_space:  global
        .offset:         8
        .size:           8
        .value_kind:     global_buffer
      - .address_space:  global
        .offset:         16
        .size:           8
        .value_kind:     global_buffer
      - .offset:         24
        .size:           4
        .value_kind:     by_value
      - .offset:         28
        .size:           4
        .value_kind:     by_value
      - .offset:         32
        .size:           4
        .value_kind:     by_value
      - .offset:         36
        .size:           12
        .value_kind:     by_value
      - .offset:         48
        .size:           12
        .value_kind:     by_value
      - .offset:         60
        .size:           12
        .value_kind:     by_value
      - .offset:         72
        .size:           12
        .value_kind:     by_value
      - .offset:         84
        .size:           12
        .value_kind:     by_value
      - .offset:         96
        .size:           4
        .value_kind:     by_value
      - .offset:         100
        .size:           4
        .value_kind:     by_value
      - .offset:         104
        .size:           4
        .value_kind:     by_value
      - .offset:         108
        .size:           4
        .value_kind:     by_value
      - .offset:         112
        .size:           4
        .value_kind:     by_value
      - .offset:         116
        .size:           4
        .value_kind:     by_value
      - .offset:         120
        .size:           4
        .value_kind:     by_value
      - .offset:         124
        .size:           4
        .value_kind:     by_value
      - .offset:         128
        .size:           4
        .value_kind:     by_value
      - .offset:         132
        .size:           4
        .value_kind:     by_value
      - .offset:         136
        .size:           4
        .value_kind:     by_value
      - .address_space:  global
        .offset:         144
        .size:           8
        .value_kind:     global_buffer
      - .offset:         152
        .size:           4
        .value_kind:     hidden_block_count_x
      - .offset:         156
        .size:           4
        .value_kind:     hidden_block_count_y
      - .offset:         160
        .size:           4
        .value_kind:     hidden_block_count_z
      - .offset:         164
        .size:           2
        .value_kind:     hidden_group_size_x
      - .offset:         166
        .size:           2
        .value_kind:     hidden_group_size_y
      - .offset:         168
        .size:           2
        .value_kind:     hidden_group_size_z
      - .offset:         170
        .size:           2
        .value_kind:     hidden_remainder_x
      - .offset:         172
        .size:           2
        .value_kind:     hidden_remainder_y
      - .offset:         174
        .size:           2
        .value_kind:     hidden_remainder_z
      - .offset:         192
        .size:           8
        .value_kind:     hidden_global_offset_x
      - .offset:         200
        .size:           8
        .value_kind:     hidden_global_offset_y
      - .offset:         208
        .size:           8
        .value_kind:     hidden_global_offset_z
      - .offset:         216
        .size:           2
        .value_kind:     hidden_grid_dims
    .group_segment_fixed_size: 0
    .kernarg_segment_align: 8
    .kernarg_segment_size: 408
    .language:       OpenCL C
    .language_version:
      - 2
      - 0
    .max_flat_workgroup_size: 1024
    .name:           _ZL11k_bin_bcastIXadL_ZL6op_divffEE6__halfS0_S0_JPKS0_EEvPKT0_PKT1_PT2_iii15HIP_vector_typeIjLj3EESC_SC_SC_SC_iiiiiiiiiiiDpT3_
    .private_segment_fixed_size: 0
    .sgpr_count:     48
    .sgpr_spill_count: 0
    .symbol:         _ZL11k_bin_bcastIXadL_ZL6op_divffEE6__halfS0_S0_JPKS0_EEvPKT0_PKT1_PT2_iii15HIP_vector_typeIjLj3EESC_SC_SC_SC_iiiiiiiiiiiDpT3_.kd
    .uniform_work_group_size: 1
    .uses_dynamic_stack: false
    .vgpr_count:     16
    .vgpr_spill_count: 0
    .wavefront_size: 64
  - .args:
      - .address_space:  global
        .offset:         0
        .size:           8
        .value_kind:     global_buffer
      - .address_space:  global
        .offset:         8
        .size:           8
        .value_kind:     global_buffer
      - .address_space:  global
        .offset:         16
        .size:           8
        .value_kind:     global_buffer
      - .offset:         24
        .size:           12
        .value_kind:     by_value
      - .offset:         36
        .size:           12
        .value_kind:     by_value
      - .offset:         48
        .size:           12
        .value_kind:     by_value
      - .offset:         60
        .size:           4
        .value_kind:     by_value
      - .offset:         64
        .size:           12
        .value_kind:     by_value
      - .offset:         76
        .size:           12
        .value_kind:     by_value
      - .offset:         88
        .size:           12
        .value_kind:     by_value
      - .offset:         100
        .size:           12
        .value_kind:     by_value
      - .offset:         112
        .size:           12
        .value_kind:     by_value
      - .offset:         124
        .size:           12
        .value_kind:     by_value
      - .offset:         136
        .size:           4
        .value_kind:     by_value
      - .offset:         140
        .size:           4
        .value_kind:     by_value
      - .offset:         144
        .size:           4
        .value_kind:     by_value
      - .offset:         148
        .size:           4
        .value_kind:     by_value
      - .offset:         152
        .size:           4
        .value_kind:     by_value
      - .offset:         156
        .size:           4
        .value_kind:     by_value
      - .offset:         160
        .size:           4
        .value_kind:     by_value
      - .offset:         164
        .size:           4
        .value_kind:     by_value
      - .offset:         168
        .size:           4
        .value_kind:     by_value
      - .offset:         172
        .size:           4
        .value_kind:     by_value
      - .offset:         176
        .size:           4
        .value_kind:     by_value
      - .address_space:  global
        .offset:         184
        .size:           8
        .value_kind:     global_buffer
      - .offset:         192
        .size:           4
        .value_kind:     hidden_block_count_x
      - .offset:         196
        .size:           4
        .value_kind:     hidden_block_count_y
      - .offset:         200
        .size:           4
        .value_kind:     hidden_block_count_z
      - .offset:         204
        .size:           2
        .value_kind:     hidden_group_size_x
      - .offset:         206
        .size:           2
        .value_kind:     hidden_group_size_y
      - .offset:         208
        .size:           2
        .value_kind:     hidden_group_size_z
      - .offset:         210
        .size:           2
        .value_kind:     hidden_remainder_x
      - .offset:         212
        .size:           2
        .value_kind:     hidden_remainder_y
      - .offset:         214
        .size:           2
        .value_kind:     hidden_remainder_z
      - .offset:         232
        .size:           8
        .value_kind:     hidden_global_offset_x
      - .offset:         240
        .size:           8
        .value_kind:     hidden_global_offset_y
      - .offset:         248
        .size:           8
        .value_kind:     hidden_global_offset_z
      - .offset:         256
        .size:           2
        .value_kind:     hidden_grid_dims
    .group_segment_fixed_size: 0
    .kernarg_segment_align: 8
    .kernarg_segment_size: 448
    .language:       OpenCL C
    .language_version:
      - 2
      - 0
    .max_flat_workgroup_size: 1024
    .name:           _ZL19k_bin_bcast_unravelIXadL_ZL6op_divffEE6__halffS0_JPKfEEvPKT0_PKT1_PT2_15HIP_vector_typeIjLj3EESC_SC_jSC_SC_SC_SC_SC_SC_iiiiiiiiiiiDpT3_
    .private_segment_fixed_size: 0
    .sgpr_count:     32
    .sgpr_spill_count: 0
    .symbol:         _ZL19k_bin_bcast_unravelIXadL_ZL6op_divffEE6__halffS0_JPKfEEvPKT0_PKT1_PT2_15HIP_vector_typeIjLj3EESC_SC_jSC_SC_SC_SC_SC_SC_iiiiiiiiiiiDpT3_.kd
    .uniform_work_group_size: 1
    .uses_dynamic_stack: false
    .vgpr_count:     12
    .vgpr_spill_count: 0
    .wavefront_size: 64
  - .args:
      - .address_space:  global
        .offset:         0
        .size:           8
        .value_kind:     global_buffer
      - .address_space:  global
        .offset:         8
        .size:           8
        .value_kind:     global_buffer
      - .address_space:  global
        .offset:         16
        .size:           8
        .value_kind:     global_buffer
      - .offset:         24
        .size:           4
        .value_kind:     by_value
      - .offset:         28
        .size:           4
        .value_kind:     by_value
      - .offset:         32
        .size:           4
        .value_kind:     by_value
      - .offset:         36
        .size:           12
        .value_kind:     by_value
      - .offset:         48
        .size:           12
        .value_kind:     by_value
      - .offset:         60
        .size:           12
        .value_kind:     by_value
      - .offset:         72
        .size:           12
        .value_kind:     by_value
      - .offset:         84
        .size:           12
        .value_kind:     by_value
      - .offset:         96
        .size:           4
        .value_kind:     by_value
      - .offset:         100
        .size:           4
        .value_kind:     by_value
      - .offset:         104
        .size:           4
        .value_kind:     by_value
      - .offset:         108
        .size:           4
        .value_kind:     by_value
      - .offset:         112
        .size:           4
        .value_kind:     by_value
      - .offset:         116
        .size:           4
        .value_kind:     by_value
      - .offset:         120
        .size:           4
        .value_kind:     by_value
      - .offset:         124
        .size:           4
        .value_kind:     by_value
      - .offset:         128
        .size:           4
        .value_kind:     by_value
      - .offset:         132
        .size:           4
        .value_kind:     by_value
      - .offset:         136
        .size:           4
        .value_kind:     by_value
      - .address_space:  global
        .offset:         144
        .size:           8
        .value_kind:     global_buffer
      - .offset:         152
        .size:           4
        .value_kind:     hidden_block_count_x
      - .offset:         156
        .size:           4
        .value_kind:     hidden_block_count_y
      - .offset:         160
        .size:           4
        .value_kind:     hidden_block_count_z
      - .offset:         164
        .size:           2
        .value_kind:     hidden_group_size_x
      - .offset:         166
        .size:           2
        .value_kind:     hidden_group_size_y
      - .offset:         168
        .size:           2
        .value_kind:     hidden_group_size_z
      - .offset:         170
        .size:           2
        .value_kind:     hidden_remainder_x
      - .offset:         172
        .size:           2
        .value_kind:     hidden_remainder_y
      - .offset:         174
        .size:           2
        .value_kind:     hidden_remainder_z
      - .offset:         192
        .size:           8
        .value_kind:     hidden_global_offset_x
      - .offset:         200
        .size:           8
        .value_kind:     hidden_global_offset_y
      - .offset:         208
        .size:           8
        .value_kind:     hidden_global_offset_z
      - .offset:         216
        .size:           2
        .value_kind:     hidden_grid_dims
    .group_segment_fixed_size: 0
    .kernarg_segment_align: 8
    .kernarg_segment_size: 408
    .language:       OpenCL C
    .language_version:
      - 2
      - 0
    .max_flat_workgroup_size: 1024
    .name:           _ZL11k_bin_bcastIXadL_ZL6op_divffEE6__halffS0_JPKfEEvPKT0_PKT1_PT2_iii15HIP_vector_typeIjLj3EESC_SC_SC_SC_iiiiiiiiiiiDpT3_
    .private_segment_fixed_size: 0
    .sgpr_count:     48
    .sgpr_spill_count: 0
    .symbol:         _ZL11k_bin_bcastIXadL_ZL6op_divffEE6__halffS0_JPKfEEvPKT0_PKT1_PT2_iii15HIP_vector_typeIjLj3EESC_SC_SC_SC_iiiiiiiiiiiDpT3_.kd
    .uniform_work_group_size: 1
    .uses_dynamic_stack: false
    .vgpr_count:     16
    .vgpr_spill_count: 0
    .wavefront_size: 64
  - .args:
      - .address_space:  global
        .offset:         0
        .size:           8
        .value_kind:     global_buffer
      - .address_space:  global
        .offset:         8
        .size:           8
        .value_kind:     global_buffer
      - .address_space:  global
        .offset:         16
        .size:           8
        .value_kind:     global_buffer
      - .offset:         24
        .size:           12
        .value_kind:     by_value
      - .offset:         36
        .size:           12
        .value_kind:     by_value
      - .offset:         48
        .size:           12
        .value_kind:     by_value
      - .offset:         60
        .size:           4
        .value_kind:     by_value
      - .offset:         64
        .size:           12
        .value_kind:     by_value
      - .offset:         76
        .size:           12
        .value_kind:     by_value
      - .offset:         88
        .size:           12
        .value_kind:     by_value
      - .offset:         100
        .size:           12
        .value_kind:     by_value
      - .offset:         112
        .size:           12
        .value_kind:     by_value
      - .offset:         124
        .size:           12
        .value_kind:     by_value
      - .offset:         136
        .size:           4
        .value_kind:     by_value
      - .offset:         140
        .size:           4
        .value_kind:     by_value
      - .offset:         144
        .size:           4
        .value_kind:     by_value
      - .offset:         148
        .size:           4
        .value_kind:     by_value
      - .offset:         152
        .size:           4
        .value_kind:     by_value
      - .offset:         156
        .size:           4
        .value_kind:     by_value
      - .offset:         160
        .size:           4
        .value_kind:     by_value
      - .offset:         164
        .size:           4
        .value_kind:     by_value
      - .offset:         168
        .size:           4
        .value_kind:     by_value
      - .offset:         172
        .size:           4
        .value_kind:     by_value
      - .offset:         176
        .size:           4
        .value_kind:     by_value
      - .address_space:  global
        .offset:         184
        .size:           8
        .value_kind:     global_buffer
      - .offset:         192
        .size:           4
        .value_kind:     hidden_block_count_x
      - .offset:         196
        .size:           4
        .value_kind:     hidden_block_count_y
      - .offset:         200
        .size:           4
        .value_kind:     hidden_block_count_z
      - .offset:         204
        .size:           2
        .value_kind:     hidden_group_size_x
      - .offset:         206
        .size:           2
        .value_kind:     hidden_group_size_y
      - .offset:         208
        .size:           2
        .value_kind:     hidden_group_size_z
      - .offset:         210
        .size:           2
        .value_kind:     hidden_remainder_x
      - .offset:         212
        .size:           2
        .value_kind:     hidden_remainder_y
      - .offset:         214
        .size:           2
        .value_kind:     hidden_remainder_z
      - .offset:         232
        .size:           8
        .value_kind:     hidden_global_offset_x
      - .offset:         240
        .size:           8
        .value_kind:     hidden_global_offset_y
      - .offset:         248
        .size:           8
        .value_kind:     hidden_global_offset_z
      - .offset:         256
        .size:           2
        .value_kind:     hidden_grid_dims
    .group_segment_fixed_size: 0
    .kernarg_segment_align: 8
    .kernarg_segment_size: 448
    .language:       OpenCL C
    .language_version:
      - 2
      - 0
    .max_flat_workgroup_size: 1024
    .name:           _ZL19k_bin_bcast_unravelIXadL_ZL6op_divffEE6__halfffJPKfEEvPKT0_PKT1_PT2_15HIP_vector_typeIjLj3EESC_SC_jSC_SC_SC_SC_SC_SC_iiiiiiiiiiiDpT3_
    .private_segment_fixed_size: 0
    .sgpr_count:     32
    .sgpr_spill_count: 0
    .symbol:         _ZL19k_bin_bcast_unravelIXadL_ZL6op_divffEE6__halfffJPKfEEvPKT0_PKT1_PT2_15HIP_vector_typeIjLj3EESC_SC_jSC_SC_SC_SC_SC_SC_iiiiiiiiiiiDpT3_.kd
    .uniform_work_group_size: 1
    .uses_dynamic_stack: false
    .vgpr_count:     12
    .vgpr_spill_count: 0
    .wavefront_size: 64
  - .args:
      - .address_space:  global
        .offset:         0
        .size:           8
        .value_kind:     global_buffer
      - .address_space:  global
        .offset:         8
        .size:           8
        .value_kind:     global_buffer
      - .address_space:  global
        .offset:         16
        .size:           8
        .value_kind:     global_buffer
      - .offset:         24
        .size:           4
        .value_kind:     by_value
      - .offset:         28
        .size:           4
        .value_kind:     by_value
      - .offset:         32
        .size:           4
        .value_kind:     by_value
      - .offset:         36
        .size:           12
        .value_kind:     by_value
      - .offset:         48
        .size:           12
        .value_kind:     by_value
      - .offset:         60
        .size:           12
        .value_kind:     by_value
      - .offset:         72
        .size:           12
        .value_kind:     by_value
      - .offset:         84
        .size:           12
        .value_kind:     by_value
      - .offset:         96
        .size:           4
        .value_kind:     by_value
      - .offset:         100
        .size:           4
        .value_kind:     by_value
      - .offset:         104
        .size:           4
        .value_kind:     by_value
      - .offset:         108
        .size:           4
        .value_kind:     by_value
      - .offset:         112
        .size:           4
        .value_kind:     by_value
      - .offset:         116
        .size:           4
        .value_kind:     by_value
      - .offset:         120
        .size:           4
        .value_kind:     by_value
      - .offset:         124
        .size:           4
        .value_kind:     by_value
      - .offset:         128
        .size:           4
        .value_kind:     by_value
      - .offset:         132
        .size:           4
        .value_kind:     by_value
      - .offset:         136
        .size:           4
        .value_kind:     by_value
      - .address_space:  global
        .offset:         144
        .size:           8
        .value_kind:     global_buffer
      - .offset:         152
        .size:           4
        .value_kind:     hidden_block_count_x
      - .offset:         156
        .size:           4
        .value_kind:     hidden_block_count_y
      - .offset:         160
        .size:           4
        .value_kind:     hidden_block_count_z
      - .offset:         164
        .size:           2
        .value_kind:     hidden_group_size_x
      - .offset:         166
        .size:           2
        .value_kind:     hidden_group_size_y
      - .offset:         168
        .size:           2
        .value_kind:     hidden_group_size_z
      - .offset:         170
        .size:           2
        .value_kind:     hidden_remainder_x
      - .offset:         172
        .size:           2
        .value_kind:     hidden_remainder_y
      - .offset:         174
        .size:           2
        .value_kind:     hidden_remainder_z
      - .offset:         192
        .size:           8
        .value_kind:     hidden_global_offset_x
      - .offset:         200
        .size:           8
        .value_kind:     hidden_global_offset_y
      - .offset:         208
        .size:           8
        .value_kind:     hidden_global_offset_z
      - .offset:         216
        .size:           2
        .value_kind:     hidden_grid_dims
    .group_segment_fixed_size: 0
    .kernarg_segment_align: 8
    .kernarg_segment_size: 408
    .language:       OpenCL C
    .language_version:
      - 2
      - 0
    .max_flat_workgroup_size: 1024
    .name:           _ZL11k_bin_bcastIXadL_ZL6op_divffEE6__halfffJPKfEEvPKT0_PKT1_PT2_iii15HIP_vector_typeIjLj3EESC_SC_SC_SC_iiiiiiiiiiiDpT3_
    .private_segment_fixed_size: 0
    .sgpr_count:     48
    .sgpr_spill_count: 0
    .symbol:         _ZL11k_bin_bcastIXadL_ZL6op_divffEE6__halfffJPKfEEvPKT0_PKT1_PT2_iii15HIP_vector_typeIjLj3EESC_SC_SC_SC_iiiiiiiiiiiDpT3_.kd
    .uniform_work_group_size: 1
    .uses_dynamic_stack: false
    .vgpr_count:     16
    .vgpr_spill_count: 0
    .wavefront_size: 64
  - .args:
      - .address_space:  global
        .offset:         0
        .size:           8
        .value_kind:     global_buffer
      - .address_space:  global
        .offset:         8
        .size:           8
        .value_kind:     global_buffer
      - .address_space:  global
        .offset:         16
        .size:           8
        .value_kind:     global_buffer
      - .offset:         24
        .size:           12
        .value_kind:     by_value
      - .offset:         36
        .size:           12
        .value_kind:     by_value
      - .offset:         48
        .size:           12
        .value_kind:     by_value
      - .offset:         60
        .size:           4
        .value_kind:     by_value
      - .offset:         64
        .size:           12
        .value_kind:     by_value
      - .offset:         76
        .size:           12
        .value_kind:     by_value
      - .offset:         88
        .size:           12
        .value_kind:     by_value
      - .offset:         100
        .size:           12
        .value_kind:     by_value
      - .offset:         112
        .size:           12
        .value_kind:     by_value
      - .offset:         124
        .size:           12
        .value_kind:     by_value
      - .offset:         136
        .size:           4
        .value_kind:     by_value
      - .offset:         140
        .size:           4
        .value_kind:     by_value
      - .offset:         144
        .size:           4
        .value_kind:     by_value
      - .offset:         148
        .size:           4
        .value_kind:     by_value
      - .offset:         152
        .size:           4
        .value_kind:     by_value
      - .offset:         156
        .size:           4
        .value_kind:     by_value
      - .offset:         160
        .size:           4
        .value_kind:     by_value
      - .offset:         164
        .size:           4
        .value_kind:     by_value
      - .offset:         168
        .size:           4
        .value_kind:     by_value
      - .offset:         172
        .size:           4
        .value_kind:     by_value
      - .offset:         176
        .size:           4
        .value_kind:     by_value
      - .address_space:  global
        .offset:         184
        .size:           8
        .value_kind:     global_buffer
      - .address_space:  global
        .offset:         192
        .size:           8
        .value_kind:     global_buffer
      - .offset:         200
        .size:           4
        .value_kind:     hidden_block_count_x
      - .offset:         204
        .size:           4
        .value_kind:     hidden_block_count_y
      - .offset:         208
        .size:           4
        .value_kind:     hidden_block_count_z
      - .offset:         212
        .size:           2
        .value_kind:     hidden_group_size_x
      - .offset:         214
        .size:           2
        .value_kind:     hidden_group_size_y
      - .offset:         216
        .size:           2
        .value_kind:     hidden_group_size_z
      - .offset:         218
        .size:           2
        .value_kind:     hidden_remainder_x
      - .offset:         220
        .size:           2
        .value_kind:     hidden_remainder_y
      - .offset:         222
        .size:           2
        .value_kind:     hidden_remainder_z
      - .offset:         240
        .size:           8
        .value_kind:     hidden_global_offset_x
      - .offset:         248
        .size:           8
        .value_kind:     hidden_global_offset_y
      - .offset:         256
        .size:           8
        .value_kind:     hidden_global_offset_z
      - .offset:         264
        .size:           2
        .value_kind:     hidden_grid_dims
    .group_segment_fixed_size: 0
    .kernarg_segment_align: 8
    .kernarg_segment_size: 456
    .language:       OpenCL C
    .language_version:
      - 2
      - 0
    .max_flat_workgroup_size: 1024
    .name:           _ZL19k_bin_bcast_unravelIXadL_ZL6op_addffEEfffJPKfS1_EEvPKT0_PKT1_PT2_15HIP_vector_typeIjLj3EESB_SB_jSB_SB_SB_SB_SB_SB_iiiiiiiiiiiDpT3_
    .private_segment_fixed_size: 0
    .sgpr_count:     32
    .sgpr_spill_count: 0
    .symbol:         _ZL19k_bin_bcast_unravelIXadL_ZL6op_addffEEfffJPKfS1_EEvPKT0_PKT1_PT2_15HIP_vector_typeIjLj3EESB_SB_jSB_SB_SB_SB_SB_SB_iiiiiiiiiiiDpT3_.kd
    .uniform_work_group_size: 1
    .uses_dynamic_stack: false
    .vgpr_count:     11
    .vgpr_spill_count: 0
    .wavefront_size: 64
  - .args:
      - .address_space:  global
        .offset:         0
        .size:           8
        .value_kind:     global_buffer
      - .address_space:  global
        .offset:         8
        .size:           8
        .value_kind:     global_buffer
      - .address_space:  global
        .offset:         16
        .size:           8
        .value_kind:     global_buffer
      - .offset:         24
        .size:           4
        .value_kind:     by_value
      - .offset:         28
        .size:           4
        .value_kind:     by_value
      - .offset:         32
        .size:           4
        .value_kind:     by_value
      - .offset:         36
        .size:           12
        .value_kind:     by_value
      - .offset:         48
        .size:           12
        .value_kind:     by_value
      - .offset:         60
        .size:           12
        .value_kind:     by_value
      - .offset:         72
        .size:           12
        .value_kind:     by_value
      - .offset:         84
        .size:           12
        .value_kind:     by_value
      - .offset:         96
        .size:           4
        .value_kind:     by_value
      - .offset:         100
        .size:           4
        .value_kind:     by_value
      - .offset:         104
        .size:           4
        .value_kind:     by_value
      - .offset:         108
        .size:           4
        .value_kind:     by_value
      - .offset:         112
        .size:           4
        .value_kind:     by_value
      - .offset:         116
        .size:           4
        .value_kind:     by_value
      - .offset:         120
        .size:           4
        .value_kind:     by_value
      - .offset:         124
        .size:           4
        .value_kind:     by_value
      - .offset:         128
        .size:           4
        .value_kind:     by_value
      - .offset:         132
        .size:           4
        .value_kind:     by_value
      - .offset:         136
        .size:           4
        .value_kind:     by_value
      - .address_space:  global
        .offset:         144
        .size:           8
        .value_kind:     global_buffer
      - .address_space:  global
        .offset:         152
        .size:           8
        .value_kind:     global_buffer
      - .offset:         160
        .size:           4
        .value_kind:     hidden_block_count_x
      - .offset:         164
        .size:           4
        .value_kind:     hidden_block_count_y
      - .offset:         168
        .size:           4
        .value_kind:     hidden_block_count_z
      - .offset:         172
        .size:           2
        .value_kind:     hidden_group_size_x
      - .offset:         174
        .size:           2
        .value_kind:     hidden_group_size_y
      - .offset:         176
        .size:           2
        .value_kind:     hidden_group_size_z
      - .offset:         178
        .size:           2
        .value_kind:     hidden_remainder_x
      - .offset:         180
        .size:           2
        .value_kind:     hidden_remainder_y
      - .offset:         182
        .size:           2
        .value_kind:     hidden_remainder_z
      - .offset:         200
        .size:           8
        .value_kind:     hidden_global_offset_x
      - .offset:         208
        .size:           8
        .value_kind:     hidden_global_offset_y
      - .offset:         216
        .size:           8
        .value_kind:     hidden_global_offset_z
      - .offset:         224
        .size:           2
        .value_kind:     hidden_grid_dims
    .group_segment_fixed_size: 0
    .kernarg_segment_align: 8
    .kernarg_segment_size: 416
    .language:       OpenCL C
    .language_version:
      - 2
      - 0
    .max_flat_workgroup_size: 1024
    .name:           _ZL11k_bin_bcastIXadL_ZL6op_addffEEfffJPKfS1_EEvPKT0_PKT1_PT2_iii15HIP_vector_typeIjLj3EESB_SB_SB_SB_iiiiiiiiiiiDpT3_
    .private_segment_fixed_size: 0
    .sgpr_count:     56
    .sgpr_spill_count: 0
    .symbol:         _ZL11k_bin_bcastIXadL_ZL6op_addffEEfffJPKfS1_EEvPKT0_PKT1_PT2_iii15HIP_vector_typeIjLj3EESB_SB_SB_SB_iiiiiiiiiiiDpT3_.kd
    .uniform_work_group_size: 1
    .uses_dynamic_stack: false
    .vgpr_count:     15
    .vgpr_spill_count: 0
    .wavefront_size: 64
  - .args:
      - .address_space:  global
        .offset:         0
        .size:           8
        .value_kind:     global_buffer
      - .address_space:  global
        .offset:         8
        .size:           8
        .value_kind:     global_buffer
      - .address_space:  global
        .offset:         16
        .size:           8
        .value_kind:     global_buffer
      - .offset:         24
        .size:           12
        .value_kind:     by_value
      - .offset:         36
        .size:           12
        .value_kind:     by_value
      - .offset:         48
        .size:           12
        .value_kind:     by_value
      - .offset:         60
        .size:           4
        .value_kind:     by_value
      - .offset:         64
        .size:           12
        .value_kind:     by_value
      - .offset:         76
        .size:           12
        .value_kind:     by_value
      - .offset:         88
        .size:           12
        .value_kind:     by_value
      - .offset:         100
        .size:           12
        .value_kind:     by_value
      - .offset:         112
        .size:           12
        .value_kind:     by_value
      - .offset:         124
        .size:           12
        .value_kind:     by_value
      - .offset:         136
        .size:           4
        .value_kind:     by_value
      - .offset:         140
        .size:           4
        .value_kind:     by_value
      - .offset:         144
        .size:           4
        .value_kind:     by_value
      - .offset:         148
        .size:           4
        .value_kind:     by_value
      - .offset:         152
        .size:           4
        .value_kind:     by_value
      - .offset:         156
        .size:           4
        .value_kind:     by_value
      - .offset:         160
        .size:           4
        .value_kind:     by_value
      - .offset:         164
        .size:           4
        .value_kind:     by_value
      - .offset:         168
        .size:           4
        .value_kind:     by_value
      - .offset:         172
        .size:           4
        .value_kind:     by_value
      - .offset:         176
        .size:           4
        .value_kind:     by_value
      - .address_space:  global
        .offset:         184
        .size:           8
        .value_kind:     global_buffer
      - .address_space:  global
        .offset:         192
        .size:           8
        .value_kind:     global_buffer
      - .offset:         200
        .size:           4
        .value_kind:     hidden_block_count_x
      - .offset:         204
        .size:           4
        .value_kind:     hidden_block_count_y
      - .offset:         208
        .size:           4
        .value_kind:     hidden_block_count_z
      - .offset:         212
        .size:           2
        .value_kind:     hidden_group_size_x
      - .offset:         214
        .size:           2
        .value_kind:     hidden_group_size_y
      - .offset:         216
        .size:           2
        .value_kind:     hidden_group_size_z
      - .offset:         218
        .size:           2
        .value_kind:     hidden_remainder_x
      - .offset:         220
        .size:           2
        .value_kind:     hidden_remainder_y
      - .offset:         222
        .size:           2
        .value_kind:     hidden_remainder_z
      - .offset:         240
        .size:           8
        .value_kind:     hidden_global_offset_x
      - .offset:         248
        .size:           8
        .value_kind:     hidden_global_offset_y
      - .offset:         256
        .size:           8
        .value_kind:     hidden_global_offset_z
      - .offset:         264
        .size:           2
        .value_kind:     hidden_grid_dims
    .group_segment_fixed_size: 0
    .kernarg_segment_align: 8
    .kernarg_segment_size: 456
    .language:       OpenCL C
    .language_version:
      - 2
      - 0
    .max_flat_workgroup_size: 1024
    .name:           _ZL19k_bin_bcast_unravelIXadL_ZL6op_addffEE6__halfS0_S0_JPKS0_S2_EEvPKT0_PKT1_PT2_15HIP_vector_typeIjLj3EESC_SC_jSC_SC_SC_SC_SC_SC_iiiiiiiiiiiDpT3_
    .private_segment_fixed_size: 0
    .sgpr_count:     32
    .sgpr_spill_count: 0
    .symbol:         _ZL19k_bin_bcast_unravelIXadL_ZL6op_addffEE6__halfS0_S0_JPKS0_S2_EEvPKT0_PKT1_PT2_15HIP_vector_typeIjLj3EESC_SC_jSC_SC_SC_SC_SC_SC_iiiiiiiiiiiDpT3_.kd
    .uniform_work_group_size: 1
    .uses_dynamic_stack: false
    .vgpr_count:     11
    .vgpr_spill_count: 0
    .wavefront_size: 64
  - .args:
      - .address_space:  global
        .offset:         0
        .size:           8
        .value_kind:     global_buffer
      - .address_space:  global
        .offset:         8
        .size:           8
        .value_kind:     global_buffer
      - .address_space:  global
        .offset:         16
        .size:           8
        .value_kind:     global_buffer
      - .offset:         24
        .size:           4
        .value_kind:     by_value
      - .offset:         28
        .size:           4
        .value_kind:     by_value
      - .offset:         32
        .size:           4
        .value_kind:     by_value
      - .offset:         36
        .size:           12
        .value_kind:     by_value
      - .offset:         48
        .size:           12
        .value_kind:     by_value
      - .offset:         60
        .size:           12
        .value_kind:     by_value
      - .offset:         72
        .size:           12
        .value_kind:     by_value
      - .offset:         84
        .size:           12
        .value_kind:     by_value
      - .offset:         96
        .size:           4
        .value_kind:     by_value
      - .offset:         100
        .size:           4
        .value_kind:     by_value
      - .offset:         104
        .size:           4
        .value_kind:     by_value
      - .offset:         108
        .size:           4
        .value_kind:     by_value
      - .offset:         112
        .size:           4
        .value_kind:     by_value
      - .offset:         116
        .size:           4
        .value_kind:     by_value
      - .offset:         120
        .size:           4
        .value_kind:     by_value
      - .offset:         124
        .size:           4
        .value_kind:     by_value
      - .offset:         128
        .size:           4
        .value_kind:     by_value
      - .offset:         132
        .size:           4
        .value_kind:     by_value
      - .offset:         136
        .size:           4
        .value_kind:     by_value
      - .address_space:  global
        .offset:         144
        .size:           8
        .value_kind:     global_buffer
      - .address_space:  global
        .offset:         152
        .size:           8
        .value_kind:     global_buffer
      - .offset:         160
        .size:           4
        .value_kind:     hidden_block_count_x
      - .offset:         164
        .size:           4
        .value_kind:     hidden_block_count_y
      - .offset:         168
        .size:           4
        .value_kind:     hidden_block_count_z
      - .offset:         172
        .size:           2
        .value_kind:     hidden_group_size_x
      - .offset:         174
        .size:           2
        .value_kind:     hidden_group_size_y
      - .offset:         176
        .size:           2
        .value_kind:     hidden_group_size_z
      - .offset:         178
        .size:           2
        .value_kind:     hidden_remainder_x
      - .offset:         180
        .size:           2
        .value_kind:     hidden_remainder_y
      - .offset:         182
        .size:           2
        .value_kind:     hidden_remainder_z
      - .offset:         200
        .size:           8
        .value_kind:     hidden_global_offset_x
      - .offset:         208
        .size:           8
        .value_kind:     hidden_global_offset_y
      - .offset:         216
        .size:           8
        .value_kind:     hidden_global_offset_z
      - .offset:         224
        .size:           2
        .value_kind:     hidden_grid_dims
    .group_segment_fixed_size: 0
    .kernarg_segment_align: 8
    .kernarg_segment_size: 416
    .language:       OpenCL C
    .language_version:
      - 2
      - 0
    .max_flat_workgroup_size: 1024
    .name:           _ZL11k_bin_bcastIXadL_ZL6op_addffEE6__halfS0_S0_JPKS0_S2_EEvPKT0_PKT1_PT2_iii15HIP_vector_typeIjLj3EESC_SC_SC_SC_iiiiiiiiiiiDpT3_
    .private_segment_fixed_size: 0
    .sgpr_count:     56
    .sgpr_spill_count: 0
    .symbol:         _ZL11k_bin_bcastIXadL_ZL6op_addffEE6__halfS0_S0_JPKS0_S2_EEvPKT0_PKT1_PT2_iii15HIP_vector_typeIjLj3EESC_SC_SC_SC_iiiiiiiiiiiDpT3_.kd
    .uniform_work_group_size: 1
    .uses_dynamic_stack: false
    .vgpr_count:     15
    .vgpr_spill_count: 0
    .wavefront_size: 64
  - .args:
      - .address_space:  global
        .offset:         0
        .size:           8
        .value_kind:     global_buffer
      - .address_space:  global
        .offset:         8
        .size:           8
        .value_kind:     global_buffer
      - .address_space:  global
        .offset:         16
        .size:           8
        .value_kind:     global_buffer
      - .offset:         24
        .size:           12
        .value_kind:     by_value
      - .offset:         36
        .size:           12
        .value_kind:     by_value
      - .offset:         48
        .size:           12
        .value_kind:     by_value
      - .offset:         60
        .size:           4
        .value_kind:     by_value
      - .offset:         64
        .size:           12
        .value_kind:     by_value
      - .offset:         76
        .size:           12
        .value_kind:     by_value
      - .offset:         88
        .size:           12
        .value_kind:     by_value
      - .offset:         100
        .size:           12
        .value_kind:     by_value
      - .offset:         112
        .size:           12
        .value_kind:     by_value
      - .offset:         124
        .size:           12
        .value_kind:     by_value
      - .offset:         136
        .size:           4
        .value_kind:     by_value
      - .offset:         140
        .size:           4
        .value_kind:     by_value
      - .offset:         144
        .size:           4
        .value_kind:     by_value
      - .offset:         148
        .size:           4
        .value_kind:     by_value
      - .offset:         152
        .size:           4
        .value_kind:     by_value
      - .offset:         156
        .size:           4
        .value_kind:     by_value
      - .offset:         160
        .size:           4
        .value_kind:     by_value
      - .offset:         164
        .size:           4
        .value_kind:     by_value
      - .offset:         168
        .size:           4
        .value_kind:     by_value
      - .offset:         172
        .size:           4
        .value_kind:     by_value
      - .offset:         176
        .size:           4
        .value_kind:     by_value
      - .address_space:  global
        .offset:         184
        .size:           8
        .value_kind:     global_buffer
      - .address_space:  global
        .offset:         192
        .size:           8
        .value_kind:     global_buffer
      - .offset:         200
        .size:           4
        .value_kind:     hidden_block_count_x
      - .offset:         204
        .size:           4
        .value_kind:     hidden_block_count_y
      - .offset:         208
        .size:           4
        .value_kind:     hidden_block_count_z
      - .offset:         212
        .size:           2
        .value_kind:     hidden_group_size_x
      - .offset:         214
        .size:           2
        .value_kind:     hidden_group_size_y
      - .offset:         216
        .size:           2
        .value_kind:     hidden_group_size_z
      - .offset:         218
        .size:           2
        .value_kind:     hidden_remainder_x
      - .offset:         220
        .size:           2
        .value_kind:     hidden_remainder_y
      - .offset:         222
        .size:           2
        .value_kind:     hidden_remainder_z
      - .offset:         240
        .size:           8
        .value_kind:     hidden_global_offset_x
      - .offset:         248
        .size:           8
        .value_kind:     hidden_global_offset_y
      - .offset:         256
        .size:           8
        .value_kind:     hidden_global_offset_z
      - .offset:         264
        .size:           2
        .value_kind:     hidden_grid_dims
    .group_segment_fixed_size: 0
    .kernarg_segment_align: 8
    .kernarg_segment_size: 456
    .language:       OpenCL C
    .language_version:
      - 2
      - 0
    .max_flat_workgroup_size: 1024
    .name:           _ZL19k_bin_bcast_unravelIXadL_ZL6op_addffEE6__halffS0_JPKfS2_EEvPKT0_PKT1_PT2_15HIP_vector_typeIjLj3EESC_SC_jSC_SC_SC_SC_SC_SC_iiiiiiiiiiiDpT3_
    .private_segment_fixed_size: 0
    .sgpr_count:     32
    .sgpr_spill_count: 0
    .symbol:         _ZL19k_bin_bcast_unravelIXadL_ZL6op_addffEE6__halffS0_JPKfS2_EEvPKT0_PKT1_PT2_15HIP_vector_typeIjLj3EESC_SC_jSC_SC_SC_SC_SC_SC_iiiiiiiiiiiDpT3_.kd
    .uniform_work_group_size: 1
    .uses_dynamic_stack: false
    .vgpr_count:     11
    .vgpr_spill_count: 0
    .wavefront_size: 64
  - .args:
      - .address_space:  global
        .offset:         0
        .size:           8
        .value_kind:     global_buffer
      - .address_space:  global
        .offset:         8
        .size:           8
        .value_kind:     global_buffer
      - .address_space:  global
        .offset:         16
        .size:           8
        .value_kind:     global_buffer
      - .offset:         24
        .size:           4
        .value_kind:     by_value
      - .offset:         28
        .size:           4
        .value_kind:     by_value
      - .offset:         32
        .size:           4
        .value_kind:     by_value
      - .offset:         36
        .size:           12
        .value_kind:     by_value
      - .offset:         48
        .size:           12
        .value_kind:     by_value
      - .offset:         60
        .size:           12
        .value_kind:     by_value
      - .offset:         72
        .size:           12
        .value_kind:     by_value
      - .offset:         84
        .size:           12
        .value_kind:     by_value
      - .offset:         96
        .size:           4
        .value_kind:     by_value
      - .offset:         100
        .size:           4
        .value_kind:     by_value
      - .offset:         104
        .size:           4
        .value_kind:     by_value
      - .offset:         108
        .size:           4
        .value_kind:     by_value
      - .offset:         112
        .size:           4
        .value_kind:     by_value
      - .offset:         116
        .size:           4
        .value_kind:     by_value
      - .offset:         120
        .size:           4
        .value_kind:     by_value
      - .offset:         124
        .size:           4
        .value_kind:     by_value
      - .offset:         128
        .size:           4
        .value_kind:     by_value
      - .offset:         132
        .size:           4
        .value_kind:     by_value
      - .offset:         136
        .size:           4
        .value_kind:     by_value
      - .address_space:  global
        .offset:         144
        .size:           8
        .value_kind:     global_buffer
      - .address_space:  global
        .offset:         152
        .size:           8
        .value_kind:     global_buffer
      - .offset:         160
        .size:           4
        .value_kind:     hidden_block_count_x
      - .offset:         164
        .size:           4
        .value_kind:     hidden_block_count_y
      - .offset:         168
        .size:           4
        .value_kind:     hidden_block_count_z
      - .offset:         172
        .size:           2
        .value_kind:     hidden_group_size_x
      - .offset:         174
        .size:           2
        .value_kind:     hidden_group_size_y
      - .offset:         176
        .size:           2
        .value_kind:     hidden_group_size_z
      - .offset:         178
        .size:           2
        .value_kind:     hidden_remainder_x
      - .offset:         180
        .size:           2
        .value_kind:     hidden_remainder_y
      - .offset:         182
        .size:           2
        .value_kind:     hidden_remainder_z
      - .offset:         200
        .size:           8
        .value_kind:     hidden_global_offset_x
      - .offset:         208
        .size:           8
        .value_kind:     hidden_global_offset_y
      - .offset:         216
        .size:           8
        .value_kind:     hidden_global_offset_z
      - .offset:         224
        .size:           2
        .value_kind:     hidden_grid_dims
    .group_segment_fixed_size: 0
    .kernarg_segment_align: 8
    .kernarg_segment_size: 416
    .language:       OpenCL C
    .language_version:
      - 2
      - 0
    .max_flat_workgroup_size: 1024
    .name:           _ZL11k_bin_bcastIXadL_ZL6op_addffEE6__halffS0_JPKfS2_EEvPKT0_PKT1_PT2_iii15HIP_vector_typeIjLj3EESC_SC_SC_SC_iiiiiiiiiiiDpT3_
    .private_segment_fixed_size: 0
    .sgpr_count:     56
    .sgpr_spill_count: 0
    .symbol:         _ZL11k_bin_bcastIXadL_ZL6op_addffEE6__halffS0_JPKfS2_EEvPKT0_PKT1_PT2_iii15HIP_vector_typeIjLj3EESC_SC_SC_SC_iiiiiiiiiiiDpT3_.kd
    .uniform_work_group_size: 1
    .uses_dynamic_stack: false
    .vgpr_count:     15
    .vgpr_spill_count: 0
    .wavefront_size: 64
  - .args:
      - .address_space:  global
        .offset:         0
        .size:           8
        .value_kind:     global_buffer
      - .address_space:  global
        .offset:         8
        .size:           8
        .value_kind:     global_buffer
      - .address_space:  global
        .offset:         16
        .size:           8
        .value_kind:     global_buffer
      - .offset:         24
        .size:           12
        .value_kind:     by_value
      - .offset:         36
        .size:           12
        .value_kind:     by_value
      - .offset:         48
        .size:           12
        .value_kind:     by_value
      - .offset:         60
        .size:           4
        .value_kind:     by_value
      - .offset:         64
        .size:           12
        .value_kind:     by_value
      - .offset:         76
        .size:           12
        .value_kind:     by_value
      - .offset:         88
        .size:           12
        .value_kind:     by_value
      - .offset:         100
        .size:           12
        .value_kind:     by_value
      - .offset:         112
        .size:           12
        .value_kind:     by_value
      - .offset:         124
        .size:           12
        .value_kind:     by_value
      - .offset:         136
        .size:           4
        .value_kind:     by_value
      - .offset:         140
        .size:           4
        .value_kind:     by_value
      - .offset:         144
        .size:           4
        .value_kind:     by_value
      - .offset:         148
        .size:           4
        .value_kind:     by_value
      - .offset:         152
        .size:           4
        .value_kind:     by_value
      - .offset:         156
        .size:           4
        .value_kind:     by_value
      - .offset:         160
        .size:           4
        .value_kind:     by_value
      - .offset:         164
        .size:           4
        .value_kind:     by_value
      - .offset:         168
        .size:           4
        .value_kind:     by_value
      - .offset:         172
        .size:           4
        .value_kind:     by_value
      - .offset:         176
        .size:           4
        .value_kind:     by_value
      - .address_space:  global
        .offset:         184
        .size:           8
        .value_kind:     global_buffer
      - .address_space:  global
        .offset:         192
        .size:           8
        .value_kind:     global_buffer
      - .offset:         200
        .size:           4
        .value_kind:     hidden_block_count_x
      - .offset:         204
        .size:           4
        .value_kind:     hidden_block_count_y
      - .offset:         208
        .size:           4
        .value_kind:     hidden_block_count_z
      - .offset:         212
        .size:           2
        .value_kind:     hidden_group_size_x
      - .offset:         214
        .size:           2
        .value_kind:     hidden_group_size_y
      - .offset:         216
        .size:           2
        .value_kind:     hidden_group_size_z
      - .offset:         218
        .size:           2
        .value_kind:     hidden_remainder_x
      - .offset:         220
        .size:           2
        .value_kind:     hidden_remainder_y
      - .offset:         222
        .size:           2
        .value_kind:     hidden_remainder_z
      - .offset:         240
        .size:           8
        .value_kind:     hidden_global_offset_x
      - .offset:         248
        .size:           8
        .value_kind:     hidden_global_offset_y
      - .offset:         256
        .size:           8
        .value_kind:     hidden_global_offset_z
      - .offset:         264
        .size:           2
        .value_kind:     hidden_grid_dims
    .group_segment_fixed_size: 0
    .kernarg_segment_align: 8
    .kernarg_segment_size: 456
    .language:       OpenCL C
    .language_version:
      - 2
      - 0
    .max_flat_workgroup_size: 1024
    .name:           _ZL19k_bin_bcast_unravelIXadL_ZL6op_addffEE6__halfffJPKfS2_EEvPKT0_PKT1_PT2_15HIP_vector_typeIjLj3EESC_SC_jSC_SC_SC_SC_SC_SC_iiiiiiiiiiiDpT3_
    .private_segment_fixed_size: 0
    .sgpr_count:     32
    .sgpr_spill_count: 0
    .symbol:         _ZL19k_bin_bcast_unravelIXadL_ZL6op_addffEE6__halfffJPKfS2_EEvPKT0_PKT1_PT2_15HIP_vector_typeIjLj3EESC_SC_jSC_SC_SC_SC_SC_SC_iiiiiiiiiiiDpT3_.kd
    .uniform_work_group_size: 1
    .uses_dynamic_stack: false
    .vgpr_count:     11
    .vgpr_spill_count: 0
    .wavefront_size: 64
  - .args:
      - .address_space:  global
        .offset:         0
        .size:           8
        .value_kind:     global_buffer
      - .address_space:  global
        .offset:         8
        .size:           8
        .value_kind:     global_buffer
      - .address_space:  global
        .offset:         16
        .size:           8
        .value_kind:     global_buffer
      - .offset:         24
        .size:           4
        .value_kind:     by_value
      - .offset:         28
        .size:           4
        .value_kind:     by_value
      - .offset:         32
        .size:           4
        .value_kind:     by_value
      - .offset:         36
        .size:           12
        .value_kind:     by_value
      - .offset:         48
        .size:           12
        .value_kind:     by_value
      - .offset:         60
        .size:           12
        .value_kind:     by_value
      - .offset:         72
        .size:           12
        .value_kind:     by_value
      - .offset:         84
        .size:           12
        .value_kind:     by_value
      - .offset:         96
        .size:           4
        .value_kind:     by_value
      - .offset:         100
        .size:           4
        .value_kind:     by_value
      - .offset:         104
        .size:           4
        .value_kind:     by_value
      - .offset:         108
        .size:           4
        .value_kind:     by_value
      - .offset:         112
        .size:           4
        .value_kind:     by_value
      - .offset:         116
        .size:           4
        .value_kind:     by_value
      - .offset:         120
        .size:           4
        .value_kind:     by_value
      - .offset:         124
        .size:           4
        .value_kind:     by_value
      - .offset:         128
        .size:           4
        .value_kind:     by_value
      - .offset:         132
        .size:           4
        .value_kind:     by_value
      - .offset:         136
        .size:           4
        .value_kind:     by_value
      - .address_space:  global
        .offset:         144
        .size:           8
        .value_kind:     global_buffer
      - .address_space:  global
        .offset:         152
        .size:           8
        .value_kind:     global_buffer
      - .offset:         160
        .size:           4
        .value_kind:     hidden_block_count_x
      - .offset:         164
        .size:           4
        .value_kind:     hidden_block_count_y
      - .offset:         168
        .size:           4
        .value_kind:     hidden_block_count_z
      - .offset:         172
        .size:           2
        .value_kind:     hidden_group_size_x
      - .offset:         174
        .size:           2
        .value_kind:     hidden_group_size_y
      - .offset:         176
        .size:           2
        .value_kind:     hidden_group_size_z
      - .offset:         178
        .size:           2
        .value_kind:     hidden_remainder_x
      - .offset:         180
        .size:           2
        .value_kind:     hidden_remainder_y
      - .offset:         182
        .size:           2
        .value_kind:     hidden_remainder_z
      - .offset:         200
        .size:           8
        .value_kind:     hidden_global_offset_x
      - .offset:         208
        .size:           8
        .value_kind:     hidden_global_offset_y
      - .offset:         216
        .size:           8
        .value_kind:     hidden_global_offset_z
      - .offset:         224
        .size:           2
        .value_kind:     hidden_grid_dims
    .group_segment_fixed_size: 0
    .kernarg_segment_align: 8
    .kernarg_segment_size: 416
    .language:       OpenCL C
    .language_version:
      - 2
      - 0
    .max_flat_workgroup_size: 1024
    .name:           _ZL11k_bin_bcastIXadL_ZL6op_addffEE6__halfffJPKfS2_EEvPKT0_PKT1_PT2_iii15HIP_vector_typeIjLj3EESC_SC_SC_SC_iiiiiiiiiiiDpT3_
    .private_segment_fixed_size: 0
    .sgpr_count:     56
    .sgpr_spill_count: 0
    .symbol:         _ZL11k_bin_bcastIXadL_ZL6op_addffEE6__halfffJPKfS2_EEvPKT0_PKT1_PT2_iii15HIP_vector_typeIjLj3EESC_SC_SC_SC_iiiiiiiiiiiDpT3_.kd
    .uniform_work_group_size: 1
    .uses_dynamic_stack: false
    .vgpr_count:     15
    .vgpr_spill_count: 0
    .wavefront_size: 64
  - .args:
      - .address_space:  global
        .offset:         0
        .size:           8
        .value_kind:     global_buffer
      - .address_space:  global
        .offset:         8
        .size:           8
        .value_kind:     global_buffer
      - .address_space:  global
        .offset:         16
        .size:           8
        .value_kind:     global_buffer
      - .offset:         24
        .size:           12
        .value_kind:     by_value
      - .offset:         36
        .size:           12
        .value_kind:     by_value
      - .offset:         48
        .size:           12
        .value_kind:     by_value
      - .offset:         60
        .size:           4
        .value_kind:     by_value
      - .offset:         64
        .size:           12
        .value_kind:     by_value
      - .offset:         76
        .size:           12
        .value_kind:     by_value
      - .offset:         88
        .size:           12
        .value_kind:     by_value
      - .offset:         100
        .size:           12
        .value_kind:     by_value
      - .offset:         112
        .size:           12
        .value_kind:     by_value
      - .offset:         124
        .size:           12
        .value_kind:     by_value
      - .offset:         136
        .size:           4
        .value_kind:     by_value
      - .offset:         140
        .size:           4
        .value_kind:     by_value
      - .offset:         144
        .size:           4
        .value_kind:     by_value
      - .offset:         148
        .size:           4
        .value_kind:     by_value
      - .offset:         152
        .size:           4
        .value_kind:     by_value
      - .offset:         156
        .size:           4
        .value_kind:     by_value
      - .offset:         160
        .size:           4
        .value_kind:     by_value
      - .offset:         164
        .size:           4
        .value_kind:     by_value
      - .offset:         168
        .size:           4
        .value_kind:     by_value
      - .offset:         172
        .size:           4
        .value_kind:     by_value
      - .offset:         176
        .size:           4
        .value_kind:     by_value
      - .address_space:  global
        .offset:         184
        .size:           8
        .value_kind:     global_buffer
      - .address_space:  global
        .offset:         192
        .size:           8
        .value_kind:     global_buffer
      - .address_space:  global
        .offset:         200
        .size:           8
        .value_kind:     global_buffer
      - .offset:         208
        .size:           4
        .value_kind:     hidden_block_count_x
      - .offset:         212
        .size:           4
        .value_kind:     hidden_block_count_y
      - .offset:         216
        .size:           4
        .value_kind:     hidden_block_count_z
      - .offset:         220
        .size:           2
        .value_kind:     hidden_group_size_x
      - .offset:         222
        .size:           2
        .value_kind:     hidden_group_size_y
      - .offset:         224
        .size:           2
        .value_kind:     hidden_group_size_z
      - .offset:         226
        .size:           2
        .value_kind:     hidden_remainder_x
      - .offset:         228
        .size:           2
        .value_kind:     hidden_remainder_y
      - .offset:         230
        .size:           2
        .value_kind:     hidden_remainder_z
      - .offset:         248
        .size:           8
        .value_kind:     hidden_global_offset_x
      - .offset:         256
        .size:           8
        .value_kind:     hidden_global_offset_y
      - .offset:         264
        .size:           8
        .value_kind:     hidden_global_offset_z
      - .offset:         272
        .size:           2
        .value_kind:     hidden_grid_dims
    .group_segment_fixed_size: 0
    .kernarg_segment_align: 8
    .kernarg_segment_size: 464
    .language:       OpenCL C
    .language_version:
      - 2
      - 0
    .max_flat_workgroup_size: 1024
    .name:           _ZL19k_bin_bcast_unravelIXadL_ZL6op_addffEEfffJPKfS1_S1_EEvPKT0_PKT1_PT2_15HIP_vector_typeIjLj3EESB_SB_jSB_SB_SB_SB_SB_SB_iiiiiiiiiiiDpT3_
    .private_segment_fixed_size: 0
    .sgpr_count:     32
    .sgpr_spill_count: 0
    .symbol:         _ZL19k_bin_bcast_unravelIXadL_ZL6op_addffEEfffJPKfS1_S1_EEvPKT0_PKT1_PT2_15HIP_vector_typeIjLj3EESB_SB_jSB_SB_SB_SB_SB_SB_iiiiiiiiiiiDpT3_.kd
    .uniform_work_group_size: 1
    .uses_dynamic_stack: false
    .vgpr_count:     12
    .vgpr_spill_count: 0
    .wavefront_size: 64
  - .args:
      - .address_space:  global
        .offset:         0
        .size:           8
        .value_kind:     global_buffer
      - .address_space:  global
        .offset:         8
        .size:           8
        .value_kind:     global_buffer
      - .address_space:  global
        .offset:         16
        .size:           8
        .value_kind:     global_buffer
      - .offset:         24
        .size:           4
        .value_kind:     by_value
      - .offset:         28
        .size:           4
        .value_kind:     by_value
      - .offset:         32
        .size:           4
        .value_kind:     by_value
      - .offset:         36
        .size:           12
        .value_kind:     by_value
      - .offset:         48
        .size:           12
        .value_kind:     by_value
      - .offset:         60
        .size:           12
        .value_kind:     by_value
      - .offset:         72
        .size:           12
        .value_kind:     by_value
      - .offset:         84
        .size:           12
        .value_kind:     by_value
      - .offset:         96
        .size:           4
        .value_kind:     by_value
      - .offset:         100
        .size:           4
        .value_kind:     by_value
      - .offset:         104
        .size:           4
        .value_kind:     by_value
      - .offset:         108
        .size:           4
        .value_kind:     by_value
      - .offset:         112
        .size:           4
        .value_kind:     by_value
      - .offset:         116
        .size:           4
        .value_kind:     by_value
      - .offset:         120
        .size:           4
        .value_kind:     by_value
      - .offset:         124
        .size:           4
        .value_kind:     by_value
      - .offset:         128
        .size:           4
        .value_kind:     by_value
      - .offset:         132
        .size:           4
        .value_kind:     by_value
      - .offset:         136
        .size:           4
        .value_kind:     by_value
      - .address_space:  global
        .offset:         144
        .size:           8
        .value_kind:     global_buffer
      - .address_space:  global
        .offset:         152
        .size:           8
        .value_kind:     global_buffer
      - .address_space:  global
        .offset:         160
        .size:           8
        .value_kind:     global_buffer
      - .offset:         168
        .size:           4
        .value_kind:     hidden_block_count_x
      - .offset:         172
        .size:           4
        .value_kind:     hidden_block_count_y
      - .offset:         176
        .size:           4
        .value_kind:     hidden_block_count_z
      - .offset:         180
        .size:           2
        .value_kind:     hidden_group_size_x
      - .offset:         182
        .size:           2
        .value_kind:     hidden_group_size_y
      - .offset:         184
        .size:           2
        .value_kind:     hidden_group_size_z
      - .offset:         186
        .size:           2
        .value_kind:     hidden_remainder_x
      - .offset:         188
        .size:           2
        .value_kind:     hidden_remainder_y
      - .offset:         190
        .size:           2
        .value_kind:     hidden_remainder_z
      - .offset:         208
        .size:           8
        .value_kind:     hidden_global_offset_x
      - .offset:         216
        .size:           8
        .value_kind:     hidden_global_offset_y
      - .offset:         224
        .size:           8
        .value_kind:     hidden_global_offset_z
      - .offset:         232
        .size:           2
        .value_kind:     hidden_grid_dims
    .group_segment_fixed_size: 0
    .kernarg_segment_align: 8
    .kernarg_segment_size: 424
    .language:       OpenCL C
    .language_version:
      - 2
      - 0
    .max_flat_workgroup_size: 1024
    .name:           _ZL11k_bin_bcastIXadL_ZL6op_addffEEfffJPKfS1_S1_EEvPKT0_PKT1_PT2_iii15HIP_vector_typeIjLj3EESB_SB_SB_SB_iiiiiiiiiiiDpT3_
    .private_segment_fixed_size: 0
    .sgpr_count:     56
    .sgpr_spill_count: 0
    .symbol:         _ZL11k_bin_bcastIXadL_ZL6op_addffEEfffJPKfS1_S1_EEvPKT0_PKT1_PT2_iii15HIP_vector_typeIjLj3EESB_SB_SB_SB_iiiiiiiiiiiDpT3_.kd
    .uniform_work_group_size: 1
    .uses_dynamic_stack: false
    .vgpr_count:     17
    .vgpr_spill_count: 0
    .wavefront_size: 64
  - .args:
      - .address_space:  global
        .offset:         0
        .size:           8
        .value_kind:     global_buffer
      - .address_space:  global
        .offset:         8
        .size:           8
        .value_kind:     global_buffer
      - .address_space:  global
        .offset:         16
        .size:           8
        .value_kind:     global_buffer
      - .offset:         24
        .size:           12
        .value_kind:     by_value
      - .offset:         36
        .size:           12
        .value_kind:     by_value
      - .offset:         48
        .size:           12
        .value_kind:     by_value
      - .offset:         60
        .size:           4
        .value_kind:     by_value
      - .offset:         64
        .size:           12
        .value_kind:     by_value
      - .offset:         76
        .size:           12
        .value_kind:     by_value
      - .offset:         88
        .size:           12
        .value_kind:     by_value
      - .offset:         100
        .size:           12
        .value_kind:     by_value
      - .offset:         112
        .size:           12
        .value_kind:     by_value
      - .offset:         124
        .size:           12
        .value_kind:     by_value
      - .offset:         136
        .size:           4
        .value_kind:     by_value
      - .offset:         140
        .size:           4
        .value_kind:     by_value
      - .offset:         144
        .size:           4
        .value_kind:     by_value
      - .offset:         148
        .size:           4
        .value_kind:     by_value
      - .offset:         152
        .size:           4
        .value_kind:     by_value
      - .offset:         156
        .size:           4
        .value_kind:     by_value
      - .offset:         160
        .size:           4
        .value_kind:     by_value
      - .offset:         164
        .size:           4
        .value_kind:     by_value
      - .offset:         168
        .size:           4
        .value_kind:     by_value
      - .offset:         172
        .size:           4
        .value_kind:     by_value
      - .offset:         176
        .size:           4
        .value_kind:     by_value
      - .address_space:  global
        .offset:         184
        .size:           8
        .value_kind:     global_buffer
      - .address_space:  global
        .offset:         192
        .size:           8
        .value_kind:     global_buffer
      - .address_space:  global
        .offset:         200
        .size:           8
        .value_kind:     global_buffer
      - .offset:         208
        .size:           4
        .value_kind:     hidden_block_count_x
      - .offset:         212
        .size:           4
        .value_kind:     hidden_block_count_y
      - .offset:         216
        .size:           4
        .value_kind:     hidden_block_count_z
      - .offset:         220
        .size:           2
        .value_kind:     hidden_group_size_x
      - .offset:         222
        .size:           2
        .value_kind:     hidden_group_size_y
      - .offset:         224
        .size:           2
        .value_kind:     hidden_group_size_z
      - .offset:         226
        .size:           2
        .value_kind:     hidden_remainder_x
      - .offset:         228
        .size:           2
        .value_kind:     hidden_remainder_y
      - .offset:         230
        .size:           2
        .value_kind:     hidden_remainder_z
      - .offset:         248
        .size:           8
        .value_kind:     hidden_global_offset_x
      - .offset:         256
        .size:           8
        .value_kind:     hidden_global_offset_y
      - .offset:         264
        .size:           8
        .value_kind:     hidden_global_offset_z
      - .offset:         272
        .size:           2
        .value_kind:     hidden_grid_dims
    .group_segment_fixed_size: 0
    .kernarg_segment_align: 8
    .kernarg_segment_size: 464
    .language:       OpenCL C
    .language_version:
      - 2
      - 0
    .max_flat_workgroup_size: 1024
    .name:           _ZL19k_bin_bcast_unravelIXadL_ZL6op_addffEE6__halfS0_S0_JPKS0_S2_S2_EEvPKT0_PKT1_PT2_15HIP_vector_typeIjLj3EESC_SC_jSC_SC_SC_SC_SC_SC_iiiiiiiiiiiDpT3_
    .private_segment_fixed_size: 0
    .sgpr_count:     32
    .sgpr_spill_count: 0
    .symbol:         _ZL19k_bin_bcast_unravelIXadL_ZL6op_addffEE6__halfS0_S0_JPKS0_S2_S2_EEvPKT0_PKT1_PT2_15HIP_vector_typeIjLj3EESC_SC_jSC_SC_SC_SC_SC_SC_iiiiiiiiiiiDpT3_.kd
    .uniform_work_group_size: 1
    .uses_dynamic_stack: false
    .vgpr_count:     12
    .vgpr_spill_count: 0
    .wavefront_size: 64
  - .args:
      - .address_space:  global
        .offset:         0
        .size:           8
        .value_kind:     global_buffer
      - .address_space:  global
        .offset:         8
        .size:           8
        .value_kind:     global_buffer
      - .address_space:  global
        .offset:         16
        .size:           8
        .value_kind:     global_buffer
      - .offset:         24
        .size:           4
        .value_kind:     by_value
      - .offset:         28
        .size:           4
        .value_kind:     by_value
      - .offset:         32
        .size:           4
        .value_kind:     by_value
      - .offset:         36
        .size:           12
        .value_kind:     by_value
      - .offset:         48
        .size:           12
        .value_kind:     by_value
      - .offset:         60
        .size:           12
        .value_kind:     by_value
      - .offset:         72
        .size:           12
        .value_kind:     by_value
      - .offset:         84
        .size:           12
        .value_kind:     by_value
      - .offset:         96
        .size:           4
        .value_kind:     by_value
      - .offset:         100
        .size:           4
        .value_kind:     by_value
      - .offset:         104
        .size:           4
        .value_kind:     by_value
      - .offset:         108
        .size:           4
        .value_kind:     by_value
      - .offset:         112
        .size:           4
        .value_kind:     by_value
      - .offset:         116
        .size:           4
        .value_kind:     by_value
      - .offset:         120
        .size:           4
        .value_kind:     by_value
      - .offset:         124
        .size:           4
        .value_kind:     by_value
      - .offset:         128
        .size:           4
        .value_kind:     by_value
      - .offset:         132
        .size:           4
        .value_kind:     by_value
      - .offset:         136
        .size:           4
        .value_kind:     by_value
      - .address_space:  global
        .offset:         144
        .size:           8
        .value_kind:     global_buffer
      - .address_space:  global
        .offset:         152
        .size:           8
        .value_kind:     global_buffer
      - .address_space:  global
        .offset:         160
        .size:           8
        .value_kind:     global_buffer
      - .offset:         168
        .size:           4
        .value_kind:     hidden_block_count_x
      - .offset:         172
        .size:           4
        .value_kind:     hidden_block_count_y
      - .offset:         176
        .size:           4
        .value_kind:     hidden_block_count_z
      - .offset:         180
        .size:           2
        .value_kind:     hidden_group_size_x
      - .offset:         182
        .size:           2
        .value_kind:     hidden_group_size_y
      - .offset:         184
        .size:           2
        .value_kind:     hidden_group_size_z
      - .offset:         186
        .size:           2
        .value_kind:     hidden_remainder_x
      - .offset:         188
        .size:           2
        .value_kind:     hidden_remainder_y
      - .offset:         190
        .size:           2
        .value_kind:     hidden_remainder_z
      - .offset:         208
        .size:           8
        .value_kind:     hidden_global_offset_x
      - .offset:         216
        .size:           8
        .value_kind:     hidden_global_offset_y
      - .offset:         224
        .size:           8
        .value_kind:     hidden_global_offset_z
      - .offset:         232
        .size:           2
        .value_kind:     hidden_grid_dims
    .group_segment_fixed_size: 0
    .kernarg_segment_align: 8
    .kernarg_segment_size: 424
    .language:       OpenCL C
    .language_version:
      - 2
      - 0
    .max_flat_workgroup_size: 1024
    .name:           _ZL11k_bin_bcastIXadL_ZL6op_addffEE6__halfS0_S0_JPKS0_S2_S2_EEvPKT0_PKT1_PT2_iii15HIP_vector_typeIjLj3EESC_SC_SC_SC_iiiiiiiiiiiDpT3_
    .private_segment_fixed_size: 0
    .sgpr_count:     56
    .sgpr_spill_count: 0
    .symbol:         _ZL11k_bin_bcastIXadL_ZL6op_addffEE6__halfS0_S0_JPKS0_S2_S2_EEvPKT0_PKT1_PT2_iii15HIP_vector_typeIjLj3EESC_SC_SC_SC_iiiiiiiiiiiDpT3_.kd
    .uniform_work_group_size: 1
    .uses_dynamic_stack: false
    .vgpr_count:     17
    .vgpr_spill_count: 0
    .wavefront_size: 64
  - .args:
      - .address_space:  global
        .offset:         0
        .size:           8
        .value_kind:     global_buffer
      - .address_space:  global
        .offset:         8
        .size:           8
        .value_kind:     global_buffer
      - .address_space:  global
        .offset:         16
        .size:           8
        .value_kind:     global_buffer
      - .offset:         24
        .size:           12
        .value_kind:     by_value
      - .offset:         36
        .size:           12
        .value_kind:     by_value
      - .offset:         48
        .size:           12
        .value_kind:     by_value
      - .offset:         60
        .size:           4
        .value_kind:     by_value
      - .offset:         64
        .size:           12
        .value_kind:     by_value
      - .offset:         76
        .size:           12
        .value_kind:     by_value
      - .offset:         88
        .size:           12
        .value_kind:     by_value
      - .offset:         100
        .size:           12
        .value_kind:     by_value
      - .offset:         112
        .size:           12
        .value_kind:     by_value
      - .offset:         124
        .size:           12
        .value_kind:     by_value
      - .offset:         136
        .size:           4
        .value_kind:     by_value
      - .offset:         140
        .size:           4
        .value_kind:     by_value
      - .offset:         144
        .size:           4
        .value_kind:     by_value
      - .offset:         148
        .size:           4
        .value_kind:     by_value
      - .offset:         152
        .size:           4
        .value_kind:     by_value
      - .offset:         156
        .size:           4
        .value_kind:     by_value
      - .offset:         160
        .size:           4
        .value_kind:     by_value
      - .offset:         164
        .size:           4
        .value_kind:     by_value
      - .offset:         168
        .size:           4
        .value_kind:     by_value
      - .offset:         172
        .size:           4
        .value_kind:     by_value
      - .offset:         176
        .size:           4
        .value_kind:     by_value
      - .address_space:  global
        .offset:         184
        .size:           8
        .value_kind:     global_buffer
      - .address_space:  global
        .offset:         192
        .size:           8
        .value_kind:     global_buffer
      - .address_space:  global
        .offset:         200
        .size:           8
        .value_kind:     global_buffer
      - .offset:         208
        .size:           4
        .value_kind:     hidden_block_count_x
      - .offset:         212
        .size:           4
        .value_kind:     hidden_block_count_y
      - .offset:         216
        .size:           4
        .value_kind:     hidden_block_count_z
      - .offset:         220
        .size:           2
        .value_kind:     hidden_group_size_x
      - .offset:         222
        .size:           2
        .value_kind:     hidden_group_size_y
      - .offset:         224
        .size:           2
        .value_kind:     hidden_group_size_z
      - .offset:         226
        .size:           2
        .value_kind:     hidden_remainder_x
      - .offset:         228
        .size:           2
        .value_kind:     hidden_remainder_y
      - .offset:         230
        .size:           2
        .value_kind:     hidden_remainder_z
      - .offset:         248
        .size:           8
        .value_kind:     hidden_global_offset_x
      - .offset:         256
        .size:           8
        .value_kind:     hidden_global_offset_y
      - .offset:         264
        .size:           8
        .value_kind:     hidden_global_offset_z
      - .offset:         272
        .size:           2
        .value_kind:     hidden_grid_dims
    .group_segment_fixed_size: 0
    .kernarg_segment_align: 8
    .kernarg_segment_size: 464
    .language:       OpenCL C
    .language_version:
      - 2
      - 0
    .max_flat_workgroup_size: 1024
    .name:           _ZL19k_bin_bcast_unravelIXadL_ZL6op_addffEE6__halffS0_JPKfS2_S2_EEvPKT0_PKT1_PT2_15HIP_vector_typeIjLj3EESC_SC_jSC_SC_SC_SC_SC_SC_iiiiiiiiiiiDpT3_
    .private_segment_fixed_size: 0
    .sgpr_count:     32
    .sgpr_spill_count: 0
    .symbol:         _ZL19k_bin_bcast_unravelIXadL_ZL6op_addffEE6__halffS0_JPKfS2_S2_EEvPKT0_PKT1_PT2_15HIP_vector_typeIjLj3EESC_SC_jSC_SC_SC_SC_SC_SC_iiiiiiiiiiiDpT3_.kd
    .uniform_work_group_size: 1
    .uses_dynamic_stack: false
    .vgpr_count:     12
    .vgpr_spill_count: 0
    .wavefront_size: 64
  - .args:
      - .address_space:  global
        .offset:         0
        .size:           8
        .value_kind:     global_buffer
      - .address_space:  global
        .offset:         8
        .size:           8
        .value_kind:     global_buffer
      - .address_space:  global
        .offset:         16
        .size:           8
        .value_kind:     global_buffer
      - .offset:         24
        .size:           4
        .value_kind:     by_value
      - .offset:         28
        .size:           4
        .value_kind:     by_value
      - .offset:         32
        .size:           4
        .value_kind:     by_value
      - .offset:         36
        .size:           12
        .value_kind:     by_value
      - .offset:         48
        .size:           12
        .value_kind:     by_value
      - .offset:         60
        .size:           12
        .value_kind:     by_value
      - .offset:         72
        .size:           12
        .value_kind:     by_value
      - .offset:         84
        .size:           12
        .value_kind:     by_value
      - .offset:         96
        .size:           4
        .value_kind:     by_value
      - .offset:         100
        .size:           4
        .value_kind:     by_value
      - .offset:         104
        .size:           4
        .value_kind:     by_value
      - .offset:         108
        .size:           4
        .value_kind:     by_value
      - .offset:         112
        .size:           4
        .value_kind:     by_value
      - .offset:         116
        .size:           4
        .value_kind:     by_value
      - .offset:         120
        .size:           4
        .value_kind:     by_value
      - .offset:         124
        .size:           4
        .value_kind:     by_value
      - .offset:         128
        .size:           4
        .value_kind:     by_value
      - .offset:         132
        .size:           4
        .value_kind:     by_value
      - .offset:         136
        .size:           4
        .value_kind:     by_value
      - .address_space:  global
        .offset:         144
        .size:           8
        .value_kind:     global_buffer
      - .address_space:  global
        .offset:         152
        .size:           8
        .value_kind:     global_buffer
      - .address_space:  global
        .offset:         160
        .size:           8
        .value_kind:     global_buffer
      - .offset:         168
        .size:           4
        .value_kind:     hidden_block_count_x
      - .offset:         172
        .size:           4
        .value_kind:     hidden_block_count_y
      - .offset:         176
        .size:           4
        .value_kind:     hidden_block_count_z
      - .offset:         180
        .size:           2
        .value_kind:     hidden_group_size_x
      - .offset:         182
        .size:           2
        .value_kind:     hidden_group_size_y
      - .offset:         184
        .size:           2
        .value_kind:     hidden_group_size_z
      - .offset:         186
        .size:           2
        .value_kind:     hidden_remainder_x
      - .offset:         188
        .size:           2
        .value_kind:     hidden_remainder_y
      - .offset:         190
        .size:           2
        .value_kind:     hidden_remainder_z
      - .offset:         208
        .size:           8
        .value_kind:     hidden_global_offset_x
      - .offset:         216
        .size:           8
        .value_kind:     hidden_global_offset_y
      - .offset:         224
        .size:           8
        .value_kind:     hidden_global_offset_z
      - .offset:         232
        .size:           2
        .value_kind:     hidden_grid_dims
    .group_segment_fixed_size: 0
    .kernarg_segment_align: 8
    .kernarg_segment_size: 424
    .language:       OpenCL C
    .language_version:
      - 2
      - 0
    .max_flat_workgroup_size: 1024
    .name:           _ZL11k_bin_bcastIXadL_ZL6op_addffEE6__halffS0_JPKfS2_S2_EEvPKT0_PKT1_PT2_iii15HIP_vector_typeIjLj3EESC_SC_SC_SC_iiiiiiiiiiiDpT3_
    .private_segment_fixed_size: 0
    .sgpr_count:     56
    .sgpr_spill_count: 0
    .symbol:         _ZL11k_bin_bcastIXadL_ZL6op_addffEE6__halffS0_JPKfS2_S2_EEvPKT0_PKT1_PT2_iii15HIP_vector_typeIjLj3EESC_SC_SC_SC_iiiiiiiiiiiDpT3_.kd
    .uniform_work_group_size: 1
    .uses_dynamic_stack: false
    .vgpr_count:     17
    .vgpr_spill_count: 0
    .wavefront_size: 64
  - .args:
      - .address_space:  global
        .offset:         0
        .size:           8
        .value_kind:     global_buffer
      - .address_space:  global
        .offset:         8
        .size:           8
        .value_kind:     global_buffer
      - .address_space:  global
        .offset:         16
        .size:           8
        .value_kind:     global_buffer
      - .offset:         24
        .size:           12
        .value_kind:     by_value
      - .offset:         36
        .size:           12
        .value_kind:     by_value
      - .offset:         48
        .size:           12
        .value_kind:     by_value
      - .offset:         60
        .size:           4
        .value_kind:     by_value
      - .offset:         64
        .size:           12
        .value_kind:     by_value
      - .offset:         76
        .size:           12
        .value_kind:     by_value
      - .offset:         88
        .size:           12
        .value_kind:     by_value
      - .offset:         100
        .size:           12
        .value_kind:     by_value
      - .offset:         112
        .size:           12
        .value_kind:     by_value
      - .offset:         124
        .size:           12
        .value_kind:     by_value
      - .offset:         136
        .size:           4
        .value_kind:     by_value
      - .offset:         140
        .size:           4
        .value_kind:     by_value
      - .offset:         144
        .size:           4
        .value_kind:     by_value
      - .offset:         148
        .size:           4
        .value_kind:     by_value
      - .offset:         152
        .size:           4
        .value_kind:     by_value
      - .offset:         156
        .size:           4
        .value_kind:     by_value
      - .offset:         160
        .size:           4
        .value_kind:     by_value
      - .offset:         164
        .size:           4
        .value_kind:     by_value
      - .offset:         168
        .size:           4
        .value_kind:     by_value
      - .offset:         172
        .size:           4
        .value_kind:     by_value
      - .offset:         176
        .size:           4
        .value_kind:     by_value
      - .address_space:  global
        .offset:         184
        .size:           8
        .value_kind:     global_buffer
      - .address_space:  global
        .offset:         192
        .size:           8
        .value_kind:     global_buffer
      - .address_space:  global
        .offset:         200
        .size:           8
        .value_kind:     global_buffer
      - .offset:         208
        .size:           4
        .value_kind:     hidden_block_count_x
      - .offset:         212
        .size:           4
        .value_kind:     hidden_block_count_y
      - .offset:         216
        .size:           4
        .value_kind:     hidden_block_count_z
      - .offset:         220
        .size:           2
        .value_kind:     hidden_group_size_x
      - .offset:         222
        .size:           2
        .value_kind:     hidden_group_size_y
      - .offset:         224
        .size:           2
        .value_kind:     hidden_group_size_z
      - .offset:         226
        .size:           2
        .value_kind:     hidden_remainder_x
      - .offset:         228
        .size:           2
        .value_kind:     hidden_remainder_y
      - .offset:         230
        .size:           2
        .value_kind:     hidden_remainder_z
      - .offset:         248
        .size:           8
        .value_kind:     hidden_global_offset_x
      - .offset:         256
        .size:           8
        .value_kind:     hidden_global_offset_y
      - .offset:         264
        .size:           8
        .value_kind:     hidden_global_offset_z
      - .offset:         272
        .size:           2
        .value_kind:     hidden_grid_dims
    .group_segment_fixed_size: 0
    .kernarg_segment_align: 8
    .kernarg_segment_size: 464
    .language:       OpenCL C
    .language_version:
      - 2
      - 0
    .max_flat_workgroup_size: 1024
    .name:           _ZL19k_bin_bcast_unravelIXadL_ZL6op_addffEE6__halfffJPKfS2_S2_EEvPKT0_PKT1_PT2_15HIP_vector_typeIjLj3EESC_SC_jSC_SC_SC_SC_SC_SC_iiiiiiiiiiiDpT3_
    .private_segment_fixed_size: 0
    .sgpr_count:     32
    .sgpr_spill_count: 0
    .symbol:         _ZL19k_bin_bcast_unravelIXadL_ZL6op_addffEE6__halfffJPKfS2_S2_EEvPKT0_PKT1_PT2_15HIP_vector_typeIjLj3EESC_SC_jSC_SC_SC_SC_SC_SC_iiiiiiiiiiiDpT3_.kd
    .uniform_work_group_size: 1
    .uses_dynamic_stack: false
    .vgpr_count:     12
    .vgpr_spill_count: 0
    .wavefront_size: 64
  - .args:
      - .address_space:  global
        .offset:         0
        .size:           8
        .value_kind:     global_buffer
      - .address_space:  global
        .offset:         8
        .size:           8
        .value_kind:     global_buffer
      - .address_space:  global
        .offset:         16
        .size:           8
        .value_kind:     global_buffer
      - .offset:         24
        .size:           4
        .value_kind:     by_value
      - .offset:         28
        .size:           4
        .value_kind:     by_value
      - .offset:         32
        .size:           4
        .value_kind:     by_value
      - .offset:         36
        .size:           12
        .value_kind:     by_value
      - .offset:         48
        .size:           12
        .value_kind:     by_value
      - .offset:         60
        .size:           12
        .value_kind:     by_value
      - .offset:         72
        .size:           12
        .value_kind:     by_value
      - .offset:         84
        .size:           12
        .value_kind:     by_value
      - .offset:         96
        .size:           4
        .value_kind:     by_value
      - .offset:         100
        .size:           4
        .value_kind:     by_value
      - .offset:         104
        .size:           4
        .value_kind:     by_value
      - .offset:         108
        .size:           4
        .value_kind:     by_value
      - .offset:         112
        .size:           4
        .value_kind:     by_value
      - .offset:         116
        .size:           4
        .value_kind:     by_value
      - .offset:         120
        .size:           4
        .value_kind:     by_value
      - .offset:         124
        .size:           4
        .value_kind:     by_value
      - .offset:         128
        .size:           4
        .value_kind:     by_value
      - .offset:         132
        .size:           4
        .value_kind:     by_value
      - .offset:         136
        .size:           4
        .value_kind:     by_value
      - .address_space:  global
        .offset:         144
        .size:           8
        .value_kind:     global_buffer
      - .address_space:  global
        .offset:         152
        .size:           8
        .value_kind:     global_buffer
      - .address_space:  global
        .offset:         160
        .size:           8
        .value_kind:     global_buffer
      - .offset:         168
        .size:           4
        .value_kind:     hidden_block_count_x
      - .offset:         172
        .size:           4
        .value_kind:     hidden_block_count_y
      - .offset:         176
        .size:           4
        .value_kind:     hidden_block_count_z
      - .offset:         180
        .size:           2
        .value_kind:     hidden_group_size_x
      - .offset:         182
        .size:           2
        .value_kind:     hidden_group_size_y
      - .offset:         184
        .size:           2
        .value_kind:     hidden_group_size_z
      - .offset:         186
        .size:           2
        .value_kind:     hidden_remainder_x
      - .offset:         188
        .size:           2
        .value_kind:     hidden_remainder_y
      - .offset:         190
        .size:           2
        .value_kind:     hidden_remainder_z
      - .offset:         208
        .size:           8
        .value_kind:     hidden_global_offset_x
      - .offset:         216
        .size:           8
        .value_kind:     hidden_global_offset_y
      - .offset:         224
        .size:           8
        .value_kind:     hidden_global_offset_z
      - .offset:         232
        .size:           2
        .value_kind:     hidden_grid_dims
    .group_segment_fixed_size: 0
    .kernarg_segment_align: 8
    .kernarg_segment_size: 424
    .language:       OpenCL C
    .language_version:
      - 2
      - 0
    .max_flat_workgroup_size: 1024
    .name:           _ZL11k_bin_bcastIXadL_ZL6op_addffEE6__halfffJPKfS2_S2_EEvPKT0_PKT1_PT2_iii15HIP_vector_typeIjLj3EESC_SC_SC_SC_iiiiiiiiiiiDpT3_
    .private_segment_fixed_size: 0
    .sgpr_count:     56
    .sgpr_spill_count: 0
    .symbol:         _ZL11k_bin_bcastIXadL_ZL6op_addffEE6__halfffJPKfS2_S2_EEvPKT0_PKT1_PT2_iii15HIP_vector_typeIjLj3EESC_SC_SC_SC_iiiiiiiiiiiDpT3_.kd
    .uniform_work_group_size: 1
    .uses_dynamic_stack: false
    .vgpr_count:     17
    .vgpr_spill_count: 0
    .wavefront_size: 64
  - .args:
      - .address_space:  global
        .offset:         0
        .size:           8
        .value_kind:     global_buffer
      - .address_space:  global
        .offset:         8
        .size:           8
        .value_kind:     global_buffer
      - .address_space:  global
        .offset:         16
        .size:           8
        .value_kind:     global_buffer
      - .offset:         24
        .size:           12
        .value_kind:     by_value
      - .offset:         36
        .size:           12
        .value_kind:     by_value
      - .offset:         48
        .size:           12
        .value_kind:     by_value
      - .offset:         60
        .size:           4
        .value_kind:     by_value
      - .offset:         64
        .size:           12
        .value_kind:     by_value
      - .offset:         76
        .size:           12
        .value_kind:     by_value
      - .offset:         88
        .size:           12
        .value_kind:     by_value
      - .offset:         100
        .size:           12
        .value_kind:     by_value
      - .offset:         112
        .size:           12
        .value_kind:     by_value
      - .offset:         124
        .size:           12
        .value_kind:     by_value
      - .offset:         136
        .size:           4
        .value_kind:     by_value
      - .offset:         140
        .size:           4
        .value_kind:     by_value
      - .offset:         144
        .size:           4
        .value_kind:     by_value
      - .offset:         148
        .size:           4
        .value_kind:     by_value
      - .offset:         152
        .size:           4
        .value_kind:     by_value
      - .offset:         156
        .size:           4
        .value_kind:     by_value
      - .offset:         160
        .size:           4
        .value_kind:     by_value
      - .offset:         164
        .size:           4
        .value_kind:     by_value
      - .offset:         168
        .size:           4
        .value_kind:     by_value
      - .offset:         172
        .size:           4
        .value_kind:     by_value
      - .offset:         176
        .size:           4
        .value_kind:     by_value
      - .address_space:  global
        .offset:         184
        .size:           8
        .value_kind:     global_buffer
      - .address_space:  global
        .offset:         192
        .size:           8
        .value_kind:     global_buffer
      - .address_space:  global
        .offset:         200
        .size:           8
        .value_kind:     global_buffer
      - .address_space:  global
        .offset:         208
        .size:           8
        .value_kind:     global_buffer
      - .offset:         216
        .size:           4
        .value_kind:     hidden_block_count_x
      - .offset:         220
        .size:           4
        .value_kind:     hidden_block_count_y
      - .offset:         224
        .size:           4
        .value_kind:     hidden_block_count_z
      - .offset:         228
        .size:           2
        .value_kind:     hidden_group_size_x
      - .offset:         230
        .size:           2
        .value_kind:     hidden_group_size_y
      - .offset:         232
        .size:           2
        .value_kind:     hidden_group_size_z
      - .offset:         234
        .size:           2
        .value_kind:     hidden_remainder_x
      - .offset:         236
        .size:           2
        .value_kind:     hidden_remainder_y
      - .offset:         238
        .size:           2
        .value_kind:     hidden_remainder_z
      - .offset:         256
        .size:           8
        .value_kind:     hidden_global_offset_x
      - .offset:         264
        .size:           8
        .value_kind:     hidden_global_offset_y
      - .offset:         272
        .size:           8
        .value_kind:     hidden_global_offset_z
      - .offset:         280
        .size:           2
        .value_kind:     hidden_grid_dims
    .group_segment_fixed_size: 0
    .kernarg_segment_align: 8
    .kernarg_segment_size: 472
    .language:       OpenCL C
    .language_version:
      - 2
      - 0
    .max_flat_workgroup_size: 1024
    .name:           _ZL19k_bin_bcast_unravelIXadL_ZL6op_addffEEfffJPKfS1_S1_S1_EEvPKT0_PKT1_PT2_15HIP_vector_typeIjLj3EESB_SB_jSB_SB_SB_SB_SB_SB_iiiiiiiiiiiDpT3_
    .private_segment_fixed_size: 0
    .sgpr_count:     32
    .sgpr_spill_count: 0
    .symbol:         _ZL19k_bin_bcast_unravelIXadL_ZL6op_addffEEfffJPKfS1_S1_S1_EEvPKT0_PKT1_PT2_15HIP_vector_typeIjLj3EESB_SB_jSB_SB_SB_SB_SB_SB_iiiiiiiiiiiDpT3_.kd
    .uniform_work_group_size: 1
    .uses_dynamic_stack: false
    .vgpr_count:     13
    .vgpr_spill_count: 0
    .wavefront_size: 64
  - .args:
      - .address_space:  global
        .offset:         0
        .size:           8
        .value_kind:     global_buffer
      - .address_space:  global
        .offset:         8
        .size:           8
        .value_kind:     global_buffer
      - .address_space:  global
        .offset:         16
        .size:           8
        .value_kind:     global_buffer
      - .offset:         24
        .size:           4
        .value_kind:     by_value
      - .offset:         28
        .size:           4
        .value_kind:     by_value
      - .offset:         32
        .size:           4
        .value_kind:     by_value
      - .offset:         36
        .size:           12
        .value_kind:     by_value
      - .offset:         48
        .size:           12
        .value_kind:     by_value
      - .offset:         60
        .size:           12
        .value_kind:     by_value
      - .offset:         72
        .size:           12
        .value_kind:     by_value
      - .offset:         84
        .size:           12
        .value_kind:     by_value
      - .offset:         96
        .size:           4
        .value_kind:     by_value
      - .offset:         100
        .size:           4
        .value_kind:     by_value
      - .offset:         104
        .size:           4
        .value_kind:     by_value
      - .offset:         108
        .size:           4
        .value_kind:     by_value
      - .offset:         112
        .size:           4
        .value_kind:     by_value
      - .offset:         116
        .size:           4
        .value_kind:     by_value
      - .offset:         120
        .size:           4
        .value_kind:     by_value
      - .offset:         124
        .size:           4
        .value_kind:     by_value
      - .offset:         128
        .size:           4
        .value_kind:     by_value
      - .offset:         132
        .size:           4
        .value_kind:     by_value
      - .offset:         136
        .size:           4
        .value_kind:     by_value
      - .address_space:  global
        .offset:         144
        .size:           8
        .value_kind:     global_buffer
      - .address_space:  global
        .offset:         152
        .size:           8
        .value_kind:     global_buffer
      - .address_space:  global
        .offset:         160
        .size:           8
        .value_kind:     global_buffer
      - .address_space:  global
        .offset:         168
        .size:           8
        .value_kind:     global_buffer
      - .offset:         176
        .size:           4
        .value_kind:     hidden_block_count_x
      - .offset:         180
        .size:           4
        .value_kind:     hidden_block_count_y
      - .offset:         184
        .size:           4
        .value_kind:     hidden_block_count_z
      - .offset:         188
        .size:           2
        .value_kind:     hidden_group_size_x
      - .offset:         190
        .size:           2
        .value_kind:     hidden_group_size_y
      - .offset:         192
        .size:           2
        .value_kind:     hidden_group_size_z
      - .offset:         194
        .size:           2
        .value_kind:     hidden_remainder_x
      - .offset:         196
        .size:           2
        .value_kind:     hidden_remainder_y
      - .offset:         198
        .size:           2
        .value_kind:     hidden_remainder_z
      - .offset:         216
        .size:           8
        .value_kind:     hidden_global_offset_x
      - .offset:         224
        .size:           8
        .value_kind:     hidden_global_offset_y
      - .offset:         232
        .size:           8
        .value_kind:     hidden_global_offset_z
      - .offset:         240
        .size:           2
        .value_kind:     hidden_grid_dims
    .group_segment_fixed_size: 0
    .kernarg_segment_align: 8
    .kernarg_segment_size: 432
    .language:       OpenCL C
    .language_version:
      - 2
      - 0
    .max_flat_workgroup_size: 1024
    .name:           _ZL11k_bin_bcastIXadL_ZL6op_addffEEfffJPKfS1_S1_S1_EEvPKT0_PKT1_PT2_iii15HIP_vector_typeIjLj3EESB_SB_SB_SB_iiiiiiiiiiiDpT3_
    .private_segment_fixed_size: 0
    .sgpr_count:     48
    .sgpr_spill_count: 0
    .symbol:         _ZL11k_bin_bcastIXadL_ZL6op_addffEEfffJPKfS1_S1_S1_EEvPKT0_PKT1_PT2_iii15HIP_vector_typeIjLj3EESB_SB_SB_SB_iiiiiiiiiiiDpT3_.kd
    .uniform_work_group_size: 1
    .uses_dynamic_stack: false
    .vgpr_count:     19
    .vgpr_spill_count: 0
    .wavefront_size: 64
  - .args:
      - .address_space:  global
        .offset:         0
        .size:           8
        .value_kind:     global_buffer
      - .address_space:  global
        .offset:         8
        .size:           8
        .value_kind:     global_buffer
      - .address_space:  global
        .offset:         16
        .size:           8
        .value_kind:     global_buffer
      - .offset:         24
        .size:           12
        .value_kind:     by_value
      - .offset:         36
        .size:           12
        .value_kind:     by_value
      - .offset:         48
        .size:           12
        .value_kind:     by_value
      - .offset:         60
        .size:           4
        .value_kind:     by_value
      - .offset:         64
        .size:           12
        .value_kind:     by_value
      - .offset:         76
        .size:           12
        .value_kind:     by_value
      - .offset:         88
        .size:           12
        .value_kind:     by_value
      - .offset:         100
        .size:           12
        .value_kind:     by_value
      - .offset:         112
        .size:           12
        .value_kind:     by_value
      - .offset:         124
        .size:           12
        .value_kind:     by_value
      - .offset:         136
        .size:           4
        .value_kind:     by_value
      - .offset:         140
        .size:           4
        .value_kind:     by_value
      - .offset:         144
        .size:           4
        .value_kind:     by_value
      - .offset:         148
        .size:           4
        .value_kind:     by_value
      - .offset:         152
        .size:           4
        .value_kind:     by_value
      - .offset:         156
        .size:           4
        .value_kind:     by_value
      - .offset:         160
        .size:           4
        .value_kind:     by_value
      - .offset:         164
        .size:           4
        .value_kind:     by_value
      - .offset:         168
        .size:           4
        .value_kind:     by_value
      - .offset:         172
        .size:           4
        .value_kind:     by_value
      - .offset:         176
        .size:           4
        .value_kind:     by_value
      - .address_space:  global
        .offset:         184
        .size:           8
        .value_kind:     global_buffer
      - .address_space:  global
        .offset:         192
        .size:           8
        .value_kind:     global_buffer
      - .address_space:  global
        .offset:         200
        .size:           8
        .value_kind:     global_buffer
      - .address_space:  global
        .offset:         208
        .size:           8
        .value_kind:     global_buffer
      - .offset:         216
        .size:           4
        .value_kind:     hidden_block_count_x
      - .offset:         220
        .size:           4
        .value_kind:     hidden_block_count_y
      - .offset:         224
        .size:           4
        .value_kind:     hidden_block_count_z
      - .offset:         228
        .size:           2
        .value_kind:     hidden_group_size_x
      - .offset:         230
        .size:           2
        .value_kind:     hidden_group_size_y
      - .offset:         232
        .size:           2
        .value_kind:     hidden_group_size_z
      - .offset:         234
        .size:           2
        .value_kind:     hidden_remainder_x
      - .offset:         236
        .size:           2
        .value_kind:     hidden_remainder_y
      - .offset:         238
        .size:           2
        .value_kind:     hidden_remainder_z
      - .offset:         256
        .size:           8
        .value_kind:     hidden_global_offset_x
      - .offset:         264
        .size:           8
        .value_kind:     hidden_global_offset_y
      - .offset:         272
        .size:           8
        .value_kind:     hidden_global_offset_z
      - .offset:         280
        .size:           2
        .value_kind:     hidden_grid_dims
    .group_segment_fixed_size: 0
    .kernarg_segment_align: 8
    .kernarg_segment_size: 472
    .language:       OpenCL C
    .language_version:
      - 2
      - 0
    .max_flat_workgroup_size: 1024
    .name:           _ZL19k_bin_bcast_unravelIXadL_ZL6op_addffEE6__halfS0_S0_JPKS0_S2_S2_S2_EEvPKT0_PKT1_PT2_15HIP_vector_typeIjLj3EESC_SC_jSC_SC_SC_SC_SC_SC_iiiiiiiiiiiDpT3_
    .private_segment_fixed_size: 0
    .sgpr_count:     32
    .sgpr_spill_count: 0
    .symbol:         _ZL19k_bin_bcast_unravelIXadL_ZL6op_addffEE6__halfS0_S0_JPKS0_S2_S2_S2_EEvPKT0_PKT1_PT2_15HIP_vector_typeIjLj3EESC_SC_jSC_SC_SC_SC_SC_SC_iiiiiiiiiiiDpT3_.kd
    .uniform_work_group_size: 1
    .uses_dynamic_stack: false
    .vgpr_count:     13
    .vgpr_spill_count: 0
    .wavefront_size: 64
  - .args:
      - .address_space:  global
        .offset:         0
        .size:           8
        .value_kind:     global_buffer
      - .address_space:  global
        .offset:         8
        .size:           8
        .value_kind:     global_buffer
      - .address_space:  global
        .offset:         16
        .size:           8
        .value_kind:     global_buffer
      - .offset:         24
        .size:           4
        .value_kind:     by_value
      - .offset:         28
        .size:           4
        .value_kind:     by_value
      - .offset:         32
        .size:           4
        .value_kind:     by_value
      - .offset:         36
        .size:           12
        .value_kind:     by_value
      - .offset:         48
        .size:           12
        .value_kind:     by_value
      - .offset:         60
        .size:           12
        .value_kind:     by_value
      - .offset:         72
        .size:           12
        .value_kind:     by_value
      - .offset:         84
        .size:           12
        .value_kind:     by_value
      - .offset:         96
        .size:           4
        .value_kind:     by_value
      - .offset:         100
        .size:           4
        .value_kind:     by_value
      - .offset:         104
        .size:           4
        .value_kind:     by_value
      - .offset:         108
        .size:           4
        .value_kind:     by_value
      - .offset:         112
        .size:           4
        .value_kind:     by_value
      - .offset:         116
        .size:           4
        .value_kind:     by_value
      - .offset:         120
        .size:           4
        .value_kind:     by_value
      - .offset:         124
        .size:           4
        .value_kind:     by_value
      - .offset:         128
        .size:           4
        .value_kind:     by_value
      - .offset:         132
        .size:           4
        .value_kind:     by_value
      - .offset:         136
        .size:           4
        .value_kind:     by_value
      - .address_space:  global
        .offset:         144
        .size:           8
        .value_kind:     global_buffer
      - .address_space:  global
        .offset:         152
        .size:           8
        .value_kind:     global_buffer
      - .address_space:  global
        .offset:         160
        .size:           8
        .value_kind:     global_buffer
      - .address_space:  global
        .offset:         168
        .size:           8
        .value_kind:     global_buffer
      - .offset:         176
        .size:           4
        .value_kind:     hidden_block_count_x
      - .offset:         180
        .size:           4
        .value_kind:     hidden_block_count_y
      - .offset:         184
        .size:           4
        .value_kind:     hidden_block_count_z
      - .offset:         188
        .size:           2
        .value_kind:     hidden_group_size_x
      - .offset:         190
        .size:           2
        .value_kind:     hidden_group_size_y
      - .offset:         192
        .size:           2
        .value_kind:     hidden_group_size_z
      - .offset:         194
        .size:           2
        .value_kind:     hidden_remainder_x
      - .offset:         196
        .size:           2
        .value_kind:     hidden_remainder_y
      - .offset:         198
        .size:           2
        .value_kind:     hidden_remainder_z
      - .offset:         216
        .size:           8
        .value_kind:     hidden_global_offset_x
      - .offset:         224
        .size:           8
        .value_kind:     hidden_global_offset_y
      - .offset:         232
        .size:           8
        .value_kind:     hidden_global_offset_z
      - .offset:         240
        .size:           2
        .value_kind:     hidden_grid_dims
    .group_segment_fixed_size: 0
    .kernarg_segment_align: 8
    .kernarg_segment_size: 432
    .language:       OpenCL C
    .language_version:
      - 2
      - 0
    .max_flat_workgroup_size: 1024
    .name:           _ZL11k_bin_bcastIXadL_ZL6op_addffEE6__halfS0_S0_JPKS0_S2_S2_S2_EEvPKT0_PKT1_PT2_iii15HIP_vector_typeIjLj3EESC_SC_SC_SC_iiiiiiiiiiiDpT3_
    .private_segment_fixed_size: 0
    .sgpr_count:     48
    .sgpr_spill_count: 0
    .symbol:         _ZL11k_bin_bcastIXadL_ZL6op_addffEE6__halfS0_S0_JPKS0_S2_S2_S2_EEvPKT0_PKT1_PT2_iii15HIP_vector_typeIjLj3EESC_SC_SC_SC_iiiiiiiiiiiDpT3_.kd
    .uniform_work_group_size: 1
    .uses_dynamic_stack: false
    .vgpr_count:     19
    .vgpr_spill_count: 0
    .wavefront_size: 64
  - .args:
      - .address_space:  global
        .offset:         0
        .size:           8
        .value_kind:     global_buffer
      - .address_space:  global
        .offset:         8
        .size:           8
        .value_kind:     global_buffer
      - .address_space:  global
        .offset:         16
        .size:           8
        .value_kind:     global_buffer
      - .offset:         24
        .size:           12
        .value_kind:     by_value
      - .offset:         36
        .size:           12
        .value_kind:     by_value
      - .offset:         48
        .size:           12
        .value_kind:     by_value
      - .offset:         60
        .size:           4
        .value_kind:     by_value
      - .offset:         64
        .size:           12
        .value_kind:     by_value
      - .offset:         76
        .size:           12
        .value_kind:     by_value
      - .offset:         88
        .size:           12
        .value_kind:     by_value
      - .offset:         100
        .size:           12
        .value_kind:     by_value
      - .offset:         112
        .size:           12
        .value_kind:     by_value
      - .offset:         124
        .size:           12
        .value_kind:     by_value
      - .offset:         136
        .size:           4
        .value_kind:     by_value
      - .offset:         140
        .size:           4
        .value_kind:     by_value
      - .offset:         144
        .size:           4
        .value_kind:     by_value
      - .offset:         148
        .size:           4
        .value_kind:     by_value
      - .offset:         152
        .size:           4
        .value_kind:     by_value
      - .offset:         156
        .size:           4
        .value_kind:     by_value
      - .offset:         160
        .size:           4
        .value_kind:     by_value
      - .offset:         164
        .size:           4
        .value_kind:     by_value
      - .offset:         168
        .size:           4
        .value_kind:     by_value
      - .offset:         172
        .size:           4
        .value_kind:     by_value
      - .offset:         176
        .size:           4
        .value_kind:     by_value
      - .address_space:  global
        .offset:         184
        .size:           8
        .value_kind:     global_buffer
      - .address_space:  global
        .offset:         192
        .size:           8
        .value_kind:     global_buffer
      - .address_space:  global
        .offset:         200
        .size:           8
        .value_kind:     global_buffer
      - .address_space:  global
        .offset:         208
        .size:           8
        .value_kind:     global_buffer
      - .offset:         216
        .size:           4
        .value_kind:     hidden_block_count_x
      - .offset:         220
        .size:           4
        .value_kind:     hidden_block_count_y
      - .offset:         224
        .size:           4
        .value_kind:     hidden_block_count_z
      - .offset:         228
        .size:           2
        .value_kind:     hidden_group_size_x
      - .offset:         230
        .size:           2
        .value_kind:     hidden_group_size_y
      - .offset:         232
        .size:           2
        .value_kind:     hidden_group_size_z
      - .offset:         234
        .size:           2
        .value_kind:     hidden_remainder_x
      - .offset:         236
        .size:           2
        .value_kind:     hidden_remainder_y
      - .offset:         238
        .size:           2
        .value_kind:     hidden_remainder_z
      - .offset:         256
        .size:           8
        .value_kind:     hidden_global_offset_x
      - .offset:         264
        .size:           8
        .value_kind:     hidden_global_offset_y
      - .offset:         272
        .size:           8
        .value_kind:     hidden_global_offset_z
      - .offset:         280
        .size:           2
        .value_kind:     hidden_grid_dims
    .group_segment_fixed_size: 0
    .kernarg_segment_align: 8
    .kernarg_segment_size: 472
    .language:       OpenCL C
    .language_version:
      - 2
      - 0
    .max_flat_workgroup_size: 1024
    .name:           _ZL19k_bin_bcast_unravelIXadL_ZL6op_addffEE6__halffS0_JPKfS2_S2_S2_EEvPKT0_PKT1_PT2_15HIP_vector_typeIjLj3EESC_SC_jSC_SC_SC_SC_SC_SC_iiiiiiiiiiiDpT3_
    .private_segment_fixed_size: 0
    .sgpr_count:     32
    .sgpr_spill_count: 0
    .symbol:         _ZL19k_bin_bcast_unravelIXadL_ZL6op_addffEE6__halffS0_JPKfS2_S2_S2_EEvPKT0_PKT1_PT2_15HIP_vector_typeIjLj3EESC_SC_jSC_SC_SC_SC_SC_SC_iiiiiiiiiiiDpT3_.kd
    .uniform_work_group_size: 1
    .uses_dynamic_stack: false
    .vgpr_count:     13
    .vgpr_spill_count: 0
    .wavefront_size: 64
  - .args:
      - .address_space:  global
        .offset:         0
        .size:           8
        .value_kind:     global_buffer
      - .address_space:  global
        .offset:         8
        .size:           8
        .value_kind:     global_buffer
      - .address_space:  global
        .offset:         16
        .size:           8
        .value_kind:     global_buffer
      - .offset:         24
        .size:           4
        .value_kind:     by_value
      - .offset:         28
        .size:           4
        .value_kind:     by_value
      - .offset:         32
        .size:           4
        .value_kind:     by_value
      - .offset:         36
        .size:           12
        .value_kind:     by_value
      - .offset:         48
        .size:           12
        .value_kind:     by_value
      - .offset:         60
        .size:           12
        .value_kind:     by_value
      - .offset:         72
        .size:           12
        .value_kind:     by_value
      - .offset:         84
        .size:           12
        .value_kind:     by_value
      - .offset:         96
        .size:           4
        .value_kind:     by_value
      - .offset:         100
        .size:           4
        .value_kind:     by_value
      - .offset:         104
        .size:           4
        .value_kind:     by_value
      - .offset:         108
        .size:           4
        .value_kind:     by_value
      - .offset:         112
        .size:           4
        .value_kind:     by_value
      - .offset:         116
        .size:           4
        .value_kind:     by_value
      - .offset:         120
        .size:           4
        .value_kind:     by_value
      - .offset:         124
        .size:           4
        .value_kind:     by_value
      - .offset:         128
        .size:           4
        .value_kind:     by_value
      - .offset:         132
        .size:           4
        .value_kind:     by_value
      - .offset:         136
        .size:           4
        .value_kind:     by_value
      - .address_space:  global
        .offset:         144
        .size:           8
        .value_kind:     global_buffer
      - .address_space:  global
        .offset:         152
        .size:           8
        .value_kind:     global_buffer
      - .address_space:  global
        .offset:         160
        .size:           8
        .value_kind:     global_buffer
      - .address_space:  global
        .offset:         168
        .size:           8
        .value_kind:     global_buffer
      - .offset:         176
        .size:           4
        .value_kind:     hidden_block_count_x
      - .offset:         180
        .size:           4
        .value_kind:     hidden_block_count_y
      - .offset:         184
        .size:           4
        .value_kind:     hidden_block_count_z
      - .offset:         188
        .size:           2
        .value_kind:     hidden_group_size_x
      - .offset:         190
        .size:           2
        .value_kind:     hidden_group_size_y
      - .offset:         192
        .size:           2
        .value_kind:     hidden_group_size_z
      - .offset:         194
        .size:           2
        .value_kind:     hidden_remainder_x
      - .offset:         196
        .size:           2
        .value_kind:     hidden_remainder_y
      - .offset:         198
        .size:           2
        .value_kind:     hidden_remainder_z
      - .offset:         216
        .size:           8
        .value_kind:     hidden_global_offset_x
      - .offset:         224
        .size:           8
        .value_kind:     hidden_global_offset_y
      - .offset:         232
        .size:           8
        .value_kind:     hidden_global_offset_z
      - .offset:         240
        .size:           2
        .value_kind:     hidden_grid_dims
    .group_segment_fixed_size: 0
    .kernarg_segment_align: 8
    .kernarg_segment_size: 432
    .language:       OpenCL C
    .language_version:
      - 2
      - 0
    .max_flat_workgroup_size: 1024
    .name:           _ZL11k_bin_bcastIXadL_ZL6op_addffEE6__halffS0_JPKfS2_S2_S2_EEvPKT0_PKT1_PT2_iii15HIP_vector_typeIjLj3EESC_SC_SC_SC_iiiiiiiiiiiDpT3_
    .private_segment_fixed_size: 0
    .sgpr_count:     48
    .sgpr_spill_count: 0
    .symbol:         _ZL11k_bin_bcastIXadL_ZL6op_addffEE6__halffS0_JPKfS2_S2_S2_EEvPKT0_PKT1_PT2_iii15HIP_vector_typeIjLj3EESC_SC_SC_SC_iiiiiiiiiiiDpT3_.kd
    .uniform_work_group_size: 1
    .uses_dynamic_stack: false
    .vgpr_count:     19
    .vgpr_spill_count: 0
    .wavefront_size: 64
  - .args:
      - .address_space:  global
        .offset:         0
        .size:           8
        .value_kind:     global_buffer
      - .address_space:  global
        .offset:         8
        .size:           8
        .value_kind:     global_buffer
      - .address_space:  global
        .offset:         16
        .size:           8
        .value_kind:     global_buffer
      - .offset:         24
        .size:           12
        .value_kind:     by_value
      - .offset:         36
        .size:           12
        .value_kind:     by_value
      - .offset:         48
        .size:           12
        .value_kind:     by_value
      - .offset:         60
        .size:           4
        .value_kind:     by_value
      - .offset:         64
        .size:           12
        .value_kind:     by_value
      - .offset:         76
        .size:           12
        .value_kind:     by_value
      - .offset:         88
        .size:           12
        .value_kind:     by_value
      - .offset:         100
        .size:           12
        .value_kind:     by_value
      - .offset:         112
        .size:           12
        .value_kind:     by_value
      - .offset:         124
        .size:           12
        .value_kind:     by_value
      - .offset:         136
        .size:           4
        .value_kind:     by_value
      - .offset:         140
        .size:           4
        .value_kind:     by_value
      - .offset:         144
        .size:           4
        .value_kind:     by_value
      - .offset:         148
        .size:           4
        .value_kind:     by_value
      - .offset:         152
        .size:           4
        .value_kind:     by_value
      - .offset:         156
        .size:           4
        .value_kind:     by_value
      - .offset:         160
        .size:           4
        .value_kind:     by_value
      - .offset:         164
        .size:           4
        .value_kind:     by_value
      - .offset:         168
        .size:           4
        .value_kind:     by_value
      - .offset:         172
        .size:           4
        .value_kind:     by_value
      - .offset:         176
        .size:           4
        .value_kind:     by_value
      - .address_space:  global
        .offset:         184
        .size:           8
        .value_kind:     global_buffer
      - .address_space:  global
        .offset:         192
        .size:           8
        .value_kind:     global_buffer
      - .address_space:  global
        .offset:         200
        .size:           8
        .value_kind:     global_buffer
      - .address_space:  global
        .offset:         208
        .size:           8
        .value_kind:     global_buffer
      - .offset:         216
        .size:           4
        .value_kind:     hidden_block_count_x
      - .offset:         220
        .size:           4
        .value_kind:     hidden_block_count_y
      - .offset:         224
        .size:           4
        .value_kind:     hidden_block_count_z
      - .offset:         228
        .size:           2
        .value_kind:     hidden_group_size_x
      - .offset:         230
        .size:           2
        .value_kind:     hidden_group_size_y
      - .offset:         232
        .size:           2
        .value_kind:     hidden_group_size_z
      - .offset:         234
        .size:           2
        .value_kind:     hidden_remainder_x
      - .offset:         236
        .size:           2
        .value_kind:     hidden_remainder_y
      - .offset:         238
        .size:           2
        .value_kind:     hidden_remainder_z
      - .offset:         256
        .size:           8
        .value_kind:     hidden_global_offset_x
      - .offset:         264
        .size:           8
        .value_kind:     hidden_global_offset_y
      - .offset:         272
        .size:           8
        .value_kind:     hidden_global_offset_z
      - .offset:         280
        .size:           2
        .value_kind:     hidden_grid_dims
    .group_segment_fixed_size: 0
    .kernarg_segment_align: 8
    .kernarg_segment_size: 472
    .language:       OpenCL C
    .language_version:
      - 2
      - 0
    .max_flat_workgroup_size: 1024
    .name:           _ZL19k_bin_bcast_unravelIXadL_ZL6op_addffEE6__halfffJPKfS2_S2_S2_EEvPKT0_PKT1_PT2_15HIP_vector_typeIjLj3EESC_SC_jSC_SC_SC_SC_SC_SC_iiiiiiiiiiiDpT3_
    .private_segment_fixed_size: 0
    .sgpr_count:     32
    .sgpr_spill_count: 0
    .symbol:         _ZL19k_bin_bcast_unravelIXadL_ZL6op_addffEE6__halfffJPKfS2_S2_S2_EEvPKT0_PKT1_PT2_15HIP_vector_typeIjLj3EESC_SC_jSC_SC_SC_SC_SC_SC_iiiiiiiiiiiDpT3_.kd
    .uniform_work_group_size: 1
    .uses_dynamic_stack: false
    .vgpr_count:     13
    .vgpr_spill_count: 0
    .wavefront_size: 64
  - .args:
      - .address_space:  global
        .offset:         0
        .size:           8
        .value_kind:     global_buffer
      - .address_space:  global
        .offset:         8
        .size:           8
        .value_kind:     global_buffer
      - .address_space:  global
        .offset:         16
        .size:           8
        .value_kind:     global_buffer
      - .offset:         24
        .size:           4
        .value_kind:     by_value
      - .offset:         28
        .size:           4
        .value_kind:     by_value
      - .offset:         32
        .size:           4
        .value_kind:     by_value
      - .offset:         36
        .size:           12
        .value_kind:     by_value
      - .offset:         48
        .size:           12
        .value_kind:     by_value
      - .offset:         60
        .size:           12
        .value_kind:     by_value
      - .offset:         72
        .size:           12
        .value_kind:     by_value
      - .offset:         84
        .size:           12
        .value_kind:     by_value
      - .offset:         96
        .size:           4
        .value_kind:     by_value
      - .offset:         100
        .size:           4
        .value_kind:     by_value
      - .offset:         104
        .size:           4
        .value_kind:     by_value
      - .offset:         108
        .size:           4
        .value_kind:     by_value
      - .offset:         112
        .size:           4
        .value_kind:     by_value
      - .offset:         116
        .size:           4
        .value_kind:     by_value
      - .offset:         120
        .size:           4
        .value_kind:     by_value
      - .offset:         124
        .size:           4
        .value_kind:     by_value
      - .offset:         128
        .size:           4
        .value_kind:     by_value
      - .offset:         132
        .size:           4
        .value_kind:     by_value
      - .offset:         136
        .size:           4
        .value_kind:     by_value
      - .address_space:  global
        .offset:         144
        .size:           8
        .value_kind:     global_buffer
      - .address_space:  global
        .offset:         152
        .size:           8
        .value_kind:     global_buffer
      - .address_space:  global
        .offset:         160
        .size:           8
        .value_kind:     global_buffer
      - .address_space:  global
        .offset:         168
        .size:           8
        .value_kind:     global_buffer
      - .offset:         176
        .size:           4
        .value_kind:     hidden_block_count_x
      - .offset:         180
        .size:           4
        .value_kind:     hidden_block_count_y
      - .offset:         184
        .size:           4
        .value_kind:     hidden_block_count_z
      - .offset:         188
        .size:           2
        .value_kind:     hidden_group_size_x
      - .offset:         190
        .size:           2
        .value_kind:     hidden_group_size_y
      - .offset:         192
        .size:           2
        .value_kind:     hidden_group_size_z
      - .offset:         194
        .size:           2
        .value_kind:     hidden_remainder_x
      - .offset:         196
        .size:           2
        .value_kind:     hidden_remainder_y
      - .offset:         198
        .size:           2
        .value_kind:     hidden_remainder_z
      - .offset:         216
        .size:           8
        .value_kind:     hidden_global_offset_x
      - .offset:         224
        .size:           8
        .value_kind:     hidden_global_offset_y
      - .offset:         232
        .size:           8
        .value_kind:     hidden_global_offset_z
      - .offset:         240
        .size:           2
        .value_kind:     hidden_grid_dims
    .group_segment_fixed_size: 0
    .kernarg_segment_align: 8
    .kernarg_segment_size: 432
    .language:       OpenCL C
    .language_version:
      - 2
      - 0
    .max_flat_workgroup_size: 1024
    .name:           _ZL11k_bin_bcastIXadL_ZL6op_addffEE6__halfffJPKfS2_S2_S2_EEvPKT0_PKT1_PT2_iii15HIP_vector_typeIjLj3EESC_SC_SC_SC_iiiiiiiiiiiDpT3_
    .private_segment_fixed_size: 0
    .sgpr_count:     48
    .sgpr_spill_count: 0
    .symbol:         _ZL11k_bin_bcastIXadL_ZL6op_addffEE6__halfffJPKfS2_S2_S2_EEvPKT0_PKT1_PT2_iii15HIP_vector_typeIjLj3EESC_SC_SC_SC_iiiiiiiiiiiDpT3_.kd
    .uniform_work_group_size: 1
    .uses_dynamic_stack: false
    .vgpr_count:     19
    .vgpr_spill_count: 0
    .wavefront_size: 64
  - .args:
      - .address_space:  global
        .offset:         0
        .size:           8
        .value_kind:     global_buffer
      - .address_space:  global
        .offset:         8
        .size:           8
        .value_kind:     global_buffer
      - .address_space:  global
        .offset:         16
        .size:           8
        .value_kind:     global_buffer
      - .offset:         24
        .size:           12
        .value_kind:     by_value
      - .offset:         36
        .size:           12
        .value_kind:     by_value
      - .offset:         48
        .size:           12
        .value_kind:     by_value
      - .offset:         60
        .size:           4
        .value_kind:     by_value
      - .offset:         64
        .size:           12
        .value_kind:     by_value
      - .offset:         76
        .size:           12
        .value_kind:     by_value
      - .offset:         88
        .size:           12
        .value_kind:     by_value
      - .offset:         100
        .size:           12
        .value_kind:     by_value
      - .offset:         112
        .size:           12
        .value_kind:     by_value
      - .offset:         124
        .size:           12
        .value_kind:     by_value
      - .offset:         136
        .size:           4
        .value_kind:     by_value
      - .offset:         140
        .size:           4
        .value_kind:     by_value
      - .offset:         144
        .size:           4
        .value_kind:     by_value
      - .offset:         148
        .size:           4
        .value_kind:     by_value
      - .offset:         152
        .size:           4
        .value_kind:     by_value
      - .offset:         156
        .size:           4
        .value_kind:     by_value
      - .offset:         160
        .size:           4
        .value_kind:     by_value
      - .offset:         164
        .size:           4
        .value_kind:     by_value
      - .offset:         168
        .size:           4
        .value_kind:     by_value
      - .offset:         172
        .size:           4
        .value_kind:     by_value
      - .offset:         176
        .size:           4
        .value_kind:     by_value
      - .address_space:  global
        .offset:         184
        .size:           8
        .value_kind:     global_buffer
      - .address_space:  global
        .offset:         192
        .size:           8
        .value_kind:     global_buffer
      - .address_space:  global
        .offset:         200
        .size:           8
        .value_kind:     global_buffer
      - .address_space:  global
        .offset:         208
        .size:           8
        .value_kind:     global_buffer
      - .address_space:  global
        .offset:         216
        .size:           8
        .value_kind:     global_buffer
      - .offset:         224
        .size:           4
        .value_kind:     hidden_block_count_x
      - .offset:         228
        .size:           4
        .value_kind:     hidden_block_count_y
      - .offset:         232
        .size:           4
        .value_kind:     hidden_block_count_z
      - .offset:         236
        .size:           2
        .value_kind:     hidden_group_size_x
      - .offset:         238
        .size:           2
        .value_kind:     hidden_group_size_y
      - .offset:         240
        .size:           2
        .value_kind:     hidden_group_size_z
      - .offset:         242
        .size:           2
        .value_kind:     hidden_remainder_x
      - .offset:         244
        .size:           2
        .value_kind:     hidden_remainder_y
      - .offset:         246
        .size:           2
        .value_kind:     hidden_remainder_z
      - .offset:         264
        .size:           8
        .value_kind:     hidden_global_offset_x
      - .offset:         272
        .size:           8
        .value_kind:     hidden_global_offset_y
      - .offset:         280
        .size:           8
        .value_kind:     hidden_global_offset_z
      - .offset:         288
        .size:           2
        .value_kind:     hidden_grid_dims
    .group_segment_fixed_size: 0
    .kernarg_segment_align: 8
    .kernarg_segment_size: 480
    .language:       OpenCL C
    .language_version:
      - 2
      - 0
    .max_flat_workgroup_size: 1024
    .name:           _ZL19k_bin_bcast_unravelIXadL_ZL6op_addffEEfffJPKfS1_S1_S1_S1_EEvPKT0_PKT1_PT2_15HIP_vector_typeIjLj3EESB_SB_jSB_SB_SB_SB_SB_SB_iiiiiiiiiiiDpT3_
    .private_segment_fixed_size: 0
    .sgpr_count:     32
    .sgpr_spill_count: 0
    .symbol:         _ZL19k_bin_bcast_unravelIXadL_ZL6op_addffEEfffJPKfS1_S1_S1_S1_EEvPKT0_PKT1_PT2_15HIP_vector_typeIjLj3EESB_SB_jSB_SB_SB_SB_SB_SB_iiiiiiiiiiiDpT3_.kd
    .uniform_work_group_size: 1
    .uses_dynamic_stack: false
    .vgpr_count:     14
    .vgpr_spill_count: 0
    .wavefront_size: 64
  - .args:
      - .address_space:  global
        .offset:         0
        .size:           8
        .value_kind:     global_buffer
      - .address_space:  global
        .offset:         8
        .size:           8
        .value_kind:     global_buffer
      - .address_space:  global
        .offset:         16
        .size:           8
        .value_kind:     global_buffer
      - .offset:         24
        .size:           4
        .value_kind:     by_value
      - .offset:         28
        .size:           4
        .value_kind:     by_value
      - .offset:         32
        .size:           4
        .value_kind:     by_value
      - .offset:         36
        .size:           12
        .value_kind:     by_value
      - .offset:         48
        .size:           12
        .value_kind:     by_value
      - .offset:         60
        .size:           12
        .value_kind:     by_value
      - .offset:         72
        .size:           12
        .value_kind:     by_value
      - .offset:         84
        .size:           12
        .value_kind:     by_value
      - .offset:         96
        .size:           4
        .value_kind:     by_value
      - .offset:         100
        .size:           4
        .value_kind:     by_value
      - .offset:         104
        .size:           4
        .value_kind:     by_value
      - .offset:         108
        .size:           4
        .value_kind:     by_value
      - .offset:         112
        .size:           4
        .value_kind:     by_value
      - .offset:         116
        .size:           4
        .value_kind:     by_value
      - .offset:         120
        .size:           4
        .value_kind:     by_value
      - .offset:         124
        .size:           4
        .value_kind:     by_value
      - .offset:         128
        .size:           4
        .value_kind:     by_value
      - .offset:         132
        .size:           4
        .value_kind:     by_value
      - .offset:         136
        .size:           4
        .value_kind:     by_value
      - .address_space:  global
        .offset:         144
        .size:           8
        .value_kind:     global_buffer
      - .address_space:  global
        .offset:         152
        .size:           8
        .value_kind:     global_buffer
      - .address_space:  global
        .offset:         160
        .size:           8
        .value_kind:     global_buffer
      - .address_space:  global
        .offset:         168
        .size:           8
        .value_kind:     global_buffer
      - .address_space:  global
        .offset:         176
        .size:           8
        .value_kind:     global_buffer
      - .offset:         184
        .size:           4
        .value_kind:     hidden_block_count_x
      - .offset:         188
        .size:           4
        .value_kind:     hidden_block_count_y
      - .offset:         192
        .size:           4
        .value_kind:     hidden_block_count_z
      - .offset:         196
        .size:           2
        .value_kind:     hidden_group_size_x
      - .offset:         198
        .size:           2
        .value_kind:     hidden_group_size_y
      - .offset:         200
        .size:           2
        .value_kind:     hidden_group_size_z
      - .offset:         202
        .size:           2
        .value_kind:     hidden_remainder_x
      - .offset:         204
        .size:           2
        .value_kind:     hidden_remainder_y
      - .offset:         206
        .size:           2
        .value_kind:     hidden_remainder_z
      - .offset:         224
        .size:           8
        .value_kind:     hidden_global_offset_x
      - .offset:         232
        .size:           8
        .value_kind:     hidden_global_offset_y
      - .offset:         240
        .size:           8
        .value_kind:     hidden_global_offset_z
      - .offset:         248
        .size:           2
        .value_kind:     hidden_grid_dims
    .group_segment_fixed_size: 0
    .kernarg_segment_align: 8
    .kernarg_segment_size: 440
    .language:       OpenCL C
    .language_version:
      - 2
      - 0
    .max_flat_workgroup_size: 1024
    .name:           _ZL11k_bin_bcastIXadL_ZL6op_addffEEfffJPKfS1_S1_S1_S1_EEvPKT0_PKT1_PT2_iii15HIP_vector_typeIjLj3EESB_SB_SB_SB_iiiiiiiiiiiDpT3_
    .private_segment_fixed_size: 0
    .sgpr_count:     48
    .sgpr_spill_count: 0
    .symbol:         _ZL11k_bin_bcastIXadL_ZL6op_addffEEfffJPKfS1_S1_S1_S1_EEvPKT0_PKT1_PT2_iii15HIP_vector_typeIjLj3EESB_SB_SB_SB_iiiiiiiiiiiDpT3_.kd
    .uniform_work_group_size: 1
    .uses_dynamic_stack: false
    .vgpr_count:     29
    .vgpr_spill_count: 0
    .wavefront_size: 64
  - .args:
      - .address_space:  global
        .offset:         0
        .size:           8
        .value_kind:     global_buffer
      - .address_space:  global
        .offset:         8
        .size:           8
        .value_kind:     global_buffer
      - .address_space:  global
        .offset:         16
        .size:           8
        .value_kind:     global_buffer
      - .offset:         24
        .size:           12
        .value_kind:     by_value
      - .offset:         36
        .size:           12
        .value_kind:     by_value
      - .offset:         48
        .size:           12
        .value_kind:     by_value
      - .offset:         60
        .size:           4
        .value_kind:     by_value
      - .offset:         64
        .size:           12
        .value_kind:     by_value
      - .offset:         76
        .size:           12
        .value_kind:     by_value
      - .offset:         88
        .size:           12
        .value_kind:     by_value
      - .offset:         100
        .size:           12
        .value_kind:     by_value
      - .offset:         112
        .size:           12
        .value_kind:     by_value
      - .offset:         124
        .size:           12
        .value_kind:     by_value
      - .offset:         136
        .size:           4
        .value_kind:     by_value
      - .offset:         140
        .size:           4
        .value_kind:     by_value
      - .offset:         144
        .size:           4
        .value_kind:     by_value
      - .offset:         148
        .size:           4
        .value_kind:     by_value
      - .offset:         152
        .size:           4
        .value_kind:     by_value
      - .offset:         156
        .size:           4
        .value_kind:     by_value
      - .offset:         160
        .size:           4
        .value_kind:     by_value
      - .offset:         164
        .size:           4
        .value_kind:     by_value
      - .offset:         168
        .size:           4
        .value_kind:     by_value
      - .offset:         172
        .size:           4
        .value_kind:     by_value
      - .offset:         176
        .size:           4
        .value_kind:     by_value
      - .address_space:  global
        .offset:         184
        .size:           8
        .value_kind:     global_buffer
      - .address_space:  global
        .offset:         192
        .size:           8
        .value_kind:     global_buffer
      - .address_space:  global
        .offset:         200
        .size:           8
        .value_kind:     global_buffer
      - .address_space:  global
        .offset:         208
        .size:           8
        .value_kind:     global_buffer
      - .address_space:  global
        .offset:         216
        .size:           8
        .value_kind:     global_buffer
      - .offset:         224
        .size:           4
        .value_kind:     hidden_block_count_x
      - .offset:         228
        .size:           4
        .value_kind:     hidden_block_count_y
      - .offset:         232
        .size:           4
        .value_kind:     hidden_block_count_z
      - .offset:         236
        .size:           2
        .value_kind:     hidden_group_size_x
      - .offset:         238
        .size:           2
        .value_kind:     hidden_group_size_y
      - .offset:         240
        .size:           2
        .value_kind:     hidden_group_size_z
      - .offset:         242
        .size:           2
        .value_kind:     hidden_remainder_x
      - .offset:         244
        .size:           2
        .value_kind:     hidden_remainder_y
      - .offset:         246
        .size:           2
        .value_kind:     hidden_remainder_z
      - .offset:         264
        .size:           8
        .value_kind:     hidden_global_offset_x
      - .offset:         272
        .size:           8
        .value_kind:     hidden_global_offset_y
      - .offset:         280
        .size:           8
        .value_kind:     hidden_global_offset_z
      - .offset:         288
        .size:           2
        .value_kind:     hidden_grid_dims
    .group_segment_fixed_size: 0
    .kernarg_segment_align: 8
    .kernarg_segment_size: 480
    .language:       OpenCL C
    .language_version:
      - 2
      - 0
    .max_flat_workgroup_size: 1024
    .name:           _ZL19k_bin_bcast_unravelIXadL_ZL6op_addffEE6__halfS0_S0_JPKS0_S2_S2_S2_S2_EEvPKT0_PKT1_PT2_15HIP_vector_typeIjLj3EESC_SC_jSC_SC_SC_SC_SC_SC_iiiiiiiiiiiDpT3_
    .private_segment_fixed_size: 0
    .sgpr_count:     32
    .sgpr_spill_count: 0
    .symbol:         _ZL19k_bin_bcast_unravelIXadL_ZL6op_addffEE6__halfS0_S0_JPKS0_S2_S2_S2_S2_EEvPKT0_PKT1_PT2_15HIP_vector_typeIjLj3EESC_SC_jSC_SC_SC_SC_SC_SC_iiiiiiiiiiiDpT3_.kd
    .uniform_work_group_size: 1
    .uses_dynamic_stack: false
    .vgpr_count:     14
    .vgpr_spill_count: 0
    .wavefront_size: 64
  - .args:
      - .address_space:  global
        .offset:         0
        .size:           8
        .value_kind:     global_buffer
      - .address_space:  global
        .offset:         8
        .size:           8
        .value_kind:     global_buffer
      - .address_space:  global
        .offset:         16
        .size:           8
        .value_kind:     global_buffer
      - .offset:         24
        .size:           4
        .value_kind:     by_value
      - .offset:         28
        .size:           4
        .value_kind:     by_value
      - .offset:         32
        .size:           4
        .value_kind:     by_value
      - .offset:         36
        .size:           12
        .value_kind:     by_value
      - .offset:         48
        .size:           12
        .value_kind:     by_value
      - .offset:         60
        .size:           12
        .value_kind:     by_value
      - .offset:         72
        .size:           12
        .value_kind:     by_value
      - .offset:         84
        .size:           12
        .value_kind:     by_value
      - .offset:         96
        .size:           4
        .value_kind:     by_value
      - .offset:         100
        .size:           4
        .value_kind:     by_value
      - .offset:         104
        .size:           4
        .value_kind:     by_value
      - .offset:         108
        .size:           4
        .value_kind:     by_value
      - .offset:         112
        .size:           4
        .value_kind:     by_value
      - .offset:         116
        .size:           4
        .value_kind:     by_value
      - .offset:         120
        .size:           4
        .value_kind:     by_value
      - .offset:         124
        .size:           4
        .value_kind:     by_value
      - .offset:         128
        .size:           4
        .value_kind:     by_value
      - .offset:         132
        .size:           4
        .value_kind:     by_value
      - .offset:         136
        .size:           4
        .value_kind:     by_value
      - .address_space:  global
        .offset:         144
        .size:           8
        .value_kind:     global_buffer
      - .address_space:  global
        .offset:         152
        .size:           8
        .value_kind:     global_buffer
      - .address_space:  global
        .offset:         160
        .size:           8
        .value_kind:     global_buffer
      - .address_space:  global
        .offset:         168
        .size:           8
        .value_kind:     global_buffer
      - .address_space:  global
        .offset:         176
        .size:           8
        .value_kind:     global_buffer
      - .offset:         184
        .size:           4
        .value_kind:     hidden_block_count_x
      - .offset:         188
        .size:           4
        .value_kind:     hidden_block_count_y
      - .offset:         192
        .size:           4
        .value_kind:     hidden_block_count_z
      - .offset:         196
        .size:           2
        .value_kind:     hidden_group_size_x
      - .offset:         198
        .size:           2
        .value_kind:     hidden_group_size_y
      - .offset:         200
        .size:           2
        .value_kind:     hidden_group_size_z
      - .offset:         202
        .size:           2
        .value_kind:     hidden_remainder_x
      - .offset:         204
        .size:           2
        .value_kind:     hidden_remainder_y
      - .offset:         206
        .size:           2
        .value_kind:     hidden_remainder_z
      - .offset:         224
        .size:           8
        .value_kind:     hidden_global_offset_x
      - .offset:         232
        .size:           8
        .value_kind:     hidden_global_offset_y
      - .offset:         240
        .size:           8
        .value_kind:     hidden_global_offset_z
      - .offset:         248
        .size:           2
        .value_kind:     hidden_grid_dims
    .group_segment_fixed_size: 0
    .kernarg_segment_align: 8
    .kernarg_segment_size: 440
    .language:       OpenCL C
    .language_version:
      - 2
      - 0
    .max_flat_workgroup_size: 1024
    .name:           _ZL11k_bin_bcastIXadL_ZL6op_addffEE6__halfS0_S0_JPKS0_S2_S2_S2_S2_EEvPKT0_PKT1_PT2_iii15HIP_vector_typeIjLj3EESC_SC_SC_SC_iiiiiiiiiiiDpT3_
    .private_segment_fixed_size: 0
    .sgpr_count:     48
    .sgpr_spill_count: 0
    .symbol:         _ZL11k_bin_bcastIXadL_ZL6op_addffEE6__halfS0_S0_JPKS0_S2_S2_S2_S2_EEvPKT0_PKT1_PT2_iii15HIP_vector_typeIjLj3EESC_SC_SC_SC_iiiiiiiiiiiDpT3_.kd
    .uniform_work_group_size: 1
    .uses_dynamic_stack: false
    .vgpr_count:     29
    .vgpr_spill_count: 0
    .wavefront_size: 64
  - .args:
      - .address_space:  global
        .offset:         0
        .size:           8
        .value_kind:     global_buffer
      - .address_space:  global
        .offset:         8
        .size:           8
        .value_kind:     global_buffer
      - .address_space:  global
        .offset:         16
        .size:           8
        .value_kind:     global_buffer
      - .offset:         24
        .size:           12
        .value_kind:     by_value
      - .offset:         36
        .size:           12
        .value_kind:     by_value
      - .offset:         48
        .size:           12
        .value_kind:     by_value
      - .offset:         60
        .size:           4
        .value_kind:     by_value
      - .offset:         64
        .size:           12
        .value_kind:     by_value
      - .offset:         76
        .size:           12
        .value_kind:     by_value
      - .offset:         88
        .size:           12
        .value_kind:     by_value
      - .offset:         100
        .size:           12
        .value_kind:     by_value
      - .offset:         112
        .size:           12
        .value_kind:     by_value
      - .offset:         124
        .size:           12
        .value_kind:     by_value
      - .offset:         136
        .size:           4
        .value_kind:     by_value
      - .offset:         140
        .size:           4
        .value_kind:     by_value
      - .offset:         144
        .size:           4
        .value_kind:     by_value
      - .offset:         148
        .size:           4
        .value_kind:     by_value
      - .offset:         152
        .size:           4
        .value_kind:     by_value
      - .offset:         156
        .size:           4
        .value_kind:     by_value
      - .offset:         160
        .size:           4
        .value_kind:     by_value
      - .offset:         164
        .size:           4
        .value_kind:     by_value
      - .offset:         168
        .size:           4
        .value_kind:     by_value
      - .offset:         172
        .size:           4
        .value_kind:     by_value
      - .offset:         176
        .size:           4
        .value_kind:     by_value
      - .address_space:  global
        .offset:         184
        .size:           8
        .value_kind:     global_buffer
      - .address_space:  global
        .offset:         192
        .size:           8
        .value_kind:     global_buffer
      - .address_space:  global
        .offset:         200
        .size:           8
        .value_kind:     global_buffer
      - .address_space:  global
        .offset:         208
        .size:           8
        .value_kind:     global_buffer
      - .address_space:  global
        .offset:         216
        .size:           8
        .value_kind:     global_buffer
      - .offset:         224
        .size:           4
        .value_kind:     hidden_block_count_x
      - .offset:         228
        .size:           4
        .value_kind:     hidden_block_count_y
      - .offset:         232
        .size:           4
        .value_kind:     hidden_block_count_z
      - .offset:         236
        .size:           2
        .value_kind:     hidden_group_size_x
      - .offset:         238
        .size:           2
        .value_kind:     hidden_group_size_y
      - .offset:         240
        .size:           2
        .value_kind:     hidden_group_size_z
      - .offset:         242
        .size:           2
        .value_kind:     hidden_remainder_x
      - .offset:         244
        .size:           2
        .value_kind:     hidden_remainder_y
      - .offset:         246
        .size:           2
        .value_kind:     hidden_remainder_z
      - .offset:         264
        .size:           8
        .value_kind:     hidden_global_offset_x
      - .offset:         272
        .size:           8
        .value_kind:     hidden_global_offset_y
      - .offset:         280
        .size:           8
        .value_kind:     hidden_global_offset_z
      - .offset:         288
        .size:           2
        .value_kind:     hidden_grid_dims
    .group_segment_fixed_size: 0
    .kernarg_segment_align: 8
    .kernarg_segment_size: 480
    .language:       OpenCL C
    .language_version:
      - 2
      - 0
    .max_flat_workgroup_size: 1024
    .name:           _ZL19k_bin_bcast_unravelIXadL_ZL6op_addffEE6__halffS0_JPKfS2_S2_S2_S2_EEvPKT0_PKT1_PT2_15HIP_vector_typeIjLj3EESC_SC_jSC_SC_SC_SC_SC_SC_iiiiiiiiiiiDpT3_
    .private_segment_fixed_size: 0
    .sgpr_count:     32
    .sgpr_spill_count: 0
    .symbol:         _ZL19k_bin_bcast_unravelIXadL_ZL6op_addffEE6__halffS0_JPKfS2_S2_S2_S2_EEvPKT0_PKT1_PT2_15HIP_vector_typeIjLj3EESC_SC_jSC_SC_SC_SC_SC_SC_iiiiiiiiiiiDpT3_.kd
    .uniform_work_group_size: 1
    .uses_dynamic_stack: false
    .vgpr_count:     14
    .vgpr_spill_count: 0
    .wavefront_size: 64
  - .args:
      - .address_space:  global
        .offset:         0
        .size:           8
        .value_kind:     global_buffer
      - .address_space:  global
        .offset:         8
        .size:           8
        .value_kind:     global_buffer
      - .address_space:  global
        .offset:         16
        .size:           8
        .value_kind:     global_buffer
      - .offset:         24
        .size:           4
        .value_kind:     by_value
      - .offset:         28
        .size:           4
        .value_kind:     by_value
      - .offset:         32
        .size:           4
        .value_kind:     by_value
      - .offset:         36
        .size:           12
        .value_kind:     by_value
      - .offset:         48
        .size:           12
        .value_kind:     by_value
      - .offset:         60
        .size:           12
        .value_kind:     by_value
      - .offset:         72
        .size:           12
        .value_kind:     by_value
      - .offset:         84
        .size:           12
        .value_kind:     by_value
      - .offset:         96
        .size:           4
        .value_kind:     by_value
      - .offset:         100
        .size:           4
        .value_kind:     by_value
      - .offset:         104
        .size:           4
        .value_kind:     by_value
      - .offset:         108
        .size:           4
        .value_kind:     by_value
      - .offset:         112
        .size:           4
        .value_kind:     by_value
      - .offset:         116
        .size:           4
        .value_kind:     by_value
      - .offset:         120
        .size:           4
        .value_kind:     by_value
      - .offset:         124
        .size:           4
        .value_kind:     by_value
      - .offset:         128
        .size:           4
        .value_kind:     by_value
      - .offset:         132
        .size:           4
        .value_kind:     by_value
      - .offset:         136
        .size:           4
        .value_kind:     by_value
      - .address_space:  global
        .offset:         144
        .size:           8
        .value_kind:     global_buffer
      - .address_space:  global
        .offset:         152
        .size:           8
        .value_kind:     global_buffer
      - .address_space:  global
        .offset:         160
        .size:           8
        .value_kind:     global_buffer
      - .address_space:  global
        .offset:         168
        .size:           8
        .value_kind:     global_buffer
      - .address_space:  global
        .offset:         176
        .size:           8
        .value_kind:     global_buffer
      - .offset:         184
        .size:           4
        .value_kind:     hidden_block_count_x
      - .offset:         188
        .size:           4
        .value_kind:     hidden_block_count_y
      - .offset:         192
        .size:           4
        .value_kind:     hidden_block_count_z
      - .offset:         196
        .size:           2
        .value_kind:     hidden_group_size_x
      - .offset:         198
        .size:           2
        .value_kind:     hidden_group_size_y
      - .offset:         200
        .size:           2
        .value_kind:     hidden_group_size_z
      - .offset:         202
        .size:           2
        .value_kind:     hidden_remainder_x
      - .offset:         204
        .size:           2
        .value_kind:     hidden_remainder_y
      - .offset:         206
        .size:           2
        .value_kind:     hidden_remainder_z
      - .offset:         224
        .size:           8
        .value_kind:     hidden_global_offset_x
      - .offset:         232
        .size:           8
        .value_kind:     hidden_global_offset_y
      - .offset:         240
        .size:           8
        .value_kind:     hidden_global_offset_z
      - .offset:         248
        .size:           2
        .value_kind:     hidden_grid_dims
    .group_segment_fixed_size: 0
    .kernarg_segment_align: 8
    .kernarg_segment_size: 440
    .language:       OpenCL C
    .language_version:
      - 2
      - 0
    .max_flat_workgroup_size: 1024
    .name:           _ZL11k_bin_bcastIXadL_ZL6op_addffEE6__halffS0_JPKfS2_S2_S2_S2_EEvPKT0_PKT1_PT2_iii15HIP_vector_typeIjLj3EESC_SC_SC_SC_iiiiiiiiiiiDpT3_
    .private_segment_fixed_size: 0
    .sgpr_count:     48
    .sgpr_spill_count: 0
    .symbol:         _ZL11k_bin_bcastIXadL_ZL6op_addffEE6__halffS0_JPKfS2_S2_S2_S2_EEvPKT0_PKT1_PT2_iii15HIP_vector_typeIjLj3EESC_SC_SC_SC_iiiiiiiiiiiDpT3_.kd
    .uniform_work_group_size: 1
    .uses_dynamic_stack: false
    .vgpr_count:     29
    .vgpr_spill_count: 0
    .wavefront_size: 64
  - .args:
      - .address_space:  global
        .offset:         0
        .size:           8
        .value_kind:     global_buffer
      - .address_space:  global
        .offset:         8
        .size:           8
        .value_kind:     global_buffer
      - .address_space:  global
        .offset:         16
        .size:           8
        .value_kind:     global_buffer
      - .offset:         24
        .size:           12
        .value_kind:     by_value
      - .offset:         36
        .size:           12
        .value_kind:     by_value
      - .offset:         48
        .size:           12
        .value_kind:     by_value
      - .offset:         60
        .size:           4
        .value_kind:     by_value
      - .offset:         64
        .size:           12
        .value_kind:     by_value
      - .offset:         76
        .size:           12
        .value_kind:     by_value
      - .offset:         88
        .size:           12
        .value_kind:     by_value
      - .offset:         100
        .size:           12
        .value_kind:     by_value
      - .offset:         112
        .size:           12
        .value_kind:     by_value
      - .offset:         124
        .size:           12
        .value_kind:     by_value
      - .offset:         136
        .size:           4
        .value_kind:     by_value
      - .offset:         140
        .size:           4
        .value_kind:     by_value
      - .offset:         144
        .size:           4
        .value_kind:     by_value
      - .offset:         148
        .size:           4
        .value_kind:     by_value
      - .offset:         152
        .size:           4
        .value_kind:     by_value
      - .offset:         156
        .size:           4
        .value_kind:     by_value
      - .offset:         160
        .size:           4
        .value_kind:     by_value
      - .offset:         164
        .size:           4
        .value_kind:     by_value
      - .offset:         168
        .size:           4
        .value_kind:     by_value
      - .offset:         172
        .size:           4
        .value_kind:     by_value
      - .offset:         176
        .size:           4
        .value_kind:     by_value
      - .address_space:  global
        .offset:         184
        .size:           8
        .value_kind:     global_buffer
      - .address_space:  global
        .offset:         192
        .size:           8
        .value_kind:     global_buffer
      - .address_space:  global
        .offset:         200
        .size:           8
        .value_kind:     global_buffer
      - .address_space:  global
        .offset:         208
        .size:           8
        .value_kind:     global_buffer
      - .address_space:  global
        .offset:         216
        .size:           8
        .value_kind:     global_buffer
      - .offset:         224
        .size:           4
        .value_kind:     hidden_block_count_x
      - .offset:         228
        .size:           4
        .value_kind:     hidden_block_count_y
      - .offset:         232
        .size:           4
        .value_kind:     hidden_block_count_z
      - .offset:         236
        .size:           2
        .value_kind:     hidden_group_size_x
      - .offset:         238
        .size:           2
        .value_kind:     hidden_group_size_y
      - .offset:         240
        .size:           2
        .value_kind:     hidden_group_size_z
      - .offset:         242
        .size:           2
        .value_kind:     hidden_remainder_x
      - .offset:         244
        .size:           2
        .value_kind:     hidden_remainder_y
      - .offset:         246
        .size:           2
        .value_kind:     hidden_remainder_z
      - .offset:         264
        .size:           8
        .value_kind:     hidden_global_offset_x
      - .offset:         272
        .size:           8
        .value_kind:     hidden_global_offset_y
      - .offset:         280
        .size:           8
        .value_kind:     hidden_global_offset_z
      - .offset:         288
        .size:           2
        .value_kind:     hidden_grid_dims
    .group_segment_fixed_size: 0
    .kernarg_segment_align: 8
    .kernarg_segment_size: 480
    .language:       OpenCL C
    .language_version:
      - 2
      - 0
    .max_flat_workgroup_size: 1024
    .name:           _ZL19k_bin_bcast_unravelIXadL_ZL6op_addffEE6__halfffJPKfS2_S2_S2_S2_EEvPKT0_PKT1_PT2_15HIP_vector_typeIjLj3EESC_SC_jSC_SC_SC_SC_SC_SC_iiiiiiiiiiiDpT3_
    .private_segment_fixed_size: 0
    .sgpr_count:     32
    .sgpr_spill_count: 0
    .symbol:         _ZL19k_bin_bcast_unravelIXadL_ZL6op_addffEE6__halfffJPKfS2_S2_S2_S2_EEvPKT0_PKT1_PT2_15HIP_vector_typeIjLj3EESC_SC_jSC_SC_SC_SC_SC_SC_iiiiiiiiiiiDpT3_.kd
    .uniform_work_group_size: 1
    .uses_dynamic_stack: false
    .vgpr_count:     14
    .vgpr_spill_count: 0
    .wavefront_size: 64
  - .args:
      - .address_space:  global
        .offset:         0
        .size:           8
        .value_kind:     global_buffer
      - .address_space:  global
        .offset:         8
        .size:           8
        .value_kind:     global_buffer
      - .address_space:  global
        .offset:         16
        .size:           8
        .value_kind:     global_buffer
      - .offset:         24
        .size:           4
        .value_kind:     by_value
      - .offset:         28
        .size:           4
        .value_kind:     by_value
      - .offset:         32
        .size:           4
        .value_kind:     by_value
      - .offset:         36
        .size:           12
        .value_kind:     by_value
      - .offset:         48
        .size:           12
        .value_kind:     by_value
      - .offset:         60
        .size:           12
        .value_kind:     by_value
      - .offset:         72
        .size:           12
        .value_kind:     by_value
      - .offset:         84
        .size:           12
        .value_kind:     by_value
      - .offset:         96
        .size:           4
        .value_kind:     by_value
      - .offset:         100
        .size:           4
        .value_kind:     by_value
      - .offset:         104
        .size:           4
        .value_kind:     by_value
      - .offset:         108
        .size:           4
        .value_kind:     by_value
      - .offset:         112
        .size:           4
        .value_kind:     by_value
      - .offset:         116
        .size:           4
        .value_kind:     by_value
      - .offset:         120
        .size:           4
        .value_kind:     by_value
      - .offset:         124
        .size:           4
        .value_kind:     by_value
      - .offset:         128
        .size:           4
        .value_kind:     by_value
      - .offset:         132
        .size:           4
        .value_kind:     by_value
      - .offset:         136
        .size:           4
        .value_kind:     by_value
      - .address_space:  global
        .offset:         144
        .size:           8
        .value_kind:     global_buffer
      - .address_space:  global
        .offset:         152
        .size:           8
        .value_kind:     global_buffer
      - .address_space:  global
        .offset:         160
        .size:           8
        .value_kind:     global_buffer
      - .address_space:  global
        .offset:         168
        .size:           8
        .value_kind:     global_buffer
      - .address_space:  global
        .offset:         176
        .size:           8
        .value_kind:     global_buffer
      - .offset:         184
        .size:           4
        .value_kind:     hidden_block_count_x
      - .offset:         188
        .size:           4
        .value_kind:     hidden_block_count_y
      - .offset:         192
        .size:           4
        .value_kind:     hidden_block_count_z
      - .offset:         196
        .size:           2
        .value_kind:     hidden_group_size_x
      - .offset:         198
        .size:           2
        .value_kind:     hidden_group_size_y
      - .offset:         200
        .size:           2
        .value_kind:     hidden_group_size_z
      - .offset:         202
        .size:           2
        .value_kind:     hidden_remainder_x
      - .offset:         204
        .size:           2
        .value_kind:     hidden_remainder_y
      - .offset:         206
        .size:           2
        .value_kind:     hidden_remainder_z
      - .offset:         224
        .size:           8
        .value_kind:     hidden_global_offset_x
      - .offset:         232
        .size:           8
        .value_kind:     hidden_global_offset_y
      - .offset:         240
        .size:           8
        .value_kind:     hidden_global_offset_z
      - .offset:         248
        .size:           2
        .value_kind:     hidden_grid_dims
    .group_segment_fixed_size: 0
    .kernarg_segment_align: 8
    .kernarg_segment_size: 440
    .language:       OpenCL C
    .language_version:
      - 2
      - 0
    .max_flat_workgroup_size: 1024
    .name:           _ZL11k_bin_bcastIXadL_ZL6op_addffEE6__halfffJPKfS2_S2_S2_S2_EEvPKT0_PKT1_PT2_iii15HIP_vector_typeIjLj3EESC_SC_SC_SC_iiiiiiiiiiiDpT3_
    .private_segment_fixed_size: 0
    .sgpr_count:     48
    .sgpr_spill_count: 0
    .symbol:         _ZL11k_bin_bcastIXadL_ZL6op_addffEE6__halfffJPKfS2_S2_S2_S2_EEvPKT0_PKT1_PT2_iii15HIP_vector_typeIjLj3EESC_SC_SC_SC_iiiiiiiiiiiDpT3_.kd
    .uniform_work_group_size: 1
    .uses_dynamic_stack: false
    .vgpr_count:     29
    .vgpr_spill_count: 0
    .wavefront_size: 64
  - .args:
      - .address_space:  global
        .offset:         0
        .size:           8
        .value_kind:     global_buffer
      - .address_space:  global
        .offset:         8
        .size:           8
        .value_kind:     global_buffer
      - .address_space:  global
        .offset:         16
        .size:           8
        .value_kind:     global_buffer
      - .offset:         24
        .size:           12
        .value_kind:     by_value
      - .offset:         36
        .size:           12
        .value_kind:     by_value
      - .offset:         48
        .size:           12
        .value_kind:     by_value
      - .offset:         60
        .size:           4
        .value_kind:     by_value
      - .offset:         64
        .size:           12
        .value_kind:     by_value
      - .offset:         76
        .size:           12
        .value_kind:     by_value
      - .offset:         88
        .size:           12
        .value_kind:     by_value
      - .offset:         100
        .size:           12
        .value_kind:     by_value
      - .offset:         112
        .size:           12
        .value_kind:     by_value
      - .offset:         124
        .size:           12
        .value_kind:     by_value
      - .offset:         136
        .size:           4
        .value_kind:     by_value
      - .offset:         140
        .size:           4
        .value_kind:     by_value
      - .offset:         144
        .size:           4
        .value_kind:     by_value
      - .offset:         148
        .size:           4
        .value_kind:     by_value
      - .offset:         152
        .size:           4
        .value_kind:     by_value
      - .offset:         156
        .size:           4
        .value_kind:     by_value
      - .offset:         160
        .size:           4
        .value_kind:     by_value
      - .offset:         164
        .size:           4
        .value_kind:     by_value
      - .offset:         168
        .size:           4
        .value_kind:     by_value
      - .offset:         172
        .size:           4
        .value_kind:     by_value
      - .offset:         176
        .size:           4
        .value_kind:     by_value
      - .address_space:  global
        .offset:         184
        .size:           8
        .value_kind:     global_buffer
      - .address_space:  global
        .offset:         192
        .size:           8
        .value_kind:     global_buffer
      - .address_space:  global
        .offset:         200
        .size:           8
        .value_kind:     global_buffer
      - .address_space:  global
        .offset:         208
        .size:           8
        .value_kind:     global_buffer
      - .address_space:  global
        .offset:         216
        .size:           8
        .value_kind:     global_buffer
      - .address_space:  global
        .offset:         224
        .size:           8
        .value_kind:     global_buffer
      - .offset:         232
        .size:           4
        .value_kind:     hidden_block_count_x
      - .offset:         236
        .size:           4
        .value_kind:     hidden_block_count_y
      - .offset:         240
        .size:           4
        .value_kind:     hidden_block_count_z
      - .offset:         244
        .size:           2
        .value_kind:     hidden_group_size_x
      - .offset:         246
        .size:           2
        .value_kind:     hidden_group_size_y
      - .offset:         248
        .size:           2
        .value_kind:     hidden_group_size_z
      - .offset:         250
        .size:           2
        .value_kind:     hidden_remainder_x
      - .offset:         252
        .size:           2
        .value_kind:     hidden_remainder_y
      - .offset:         254
        .size:           2
        .value_kind:     hidden_remainder_z
      - .offset:         272
        .size:           8
        .value_kind:     hidden_global_offset_x
      - .offset:         280
        .size:           8
        .value_kind:     hidden_global_offset_y
      - .offset:         288
        .size:           8
        .value_kind:     hidden_global_offset_z
      - .offset:         296
        .size:           2
        .value_kind:     hidden_grid_dims
    .group_segment_fixed_size: 0
    .kernarg_segment_align: 8
    .kernarg_segment_size: 488
    .language:       OpenCL C
    .language_version:
      - 2
      - 0
    .max_flat_workgroup_size: 1024
    .name:           _ZL19k_bin_bcast_unravelIXadL_ZL6op_addffEEfffJPKfS1_S1_S1_S1_S1_EEvPKT0_PKT1_PT2_15HIP_vector_typeIjLj3EESB_SB_jSB_SB_SB_SB_SB_SB_iiiiiiiiiiiDpT3_
    .private_segment_fixed_size: 0
    .sgpr_count:     32
    .sgpr_spill_count: 0
    .symbol:         _ZL19k_bin_bcast_unravelIXadL_ZL6op_addffEEfffJPKfS1_S1_S1_S1_S1_EEvPKT0_PKT1_PT2_15HIP_vector_typeIjLj3EESB_SB_jSB_SB_SB_SB_SB_SB_iiiiiiiiiiiDpT3_.kd
    .uniform_work_group_size: 1
    .uses_dynamic_stack: false
    .vgpr_count:     15
    .vgpr_spill_count: 0
    .wavefront_size: 64
  - .args:
      - .address_space:  global
        .offset:         0
        .size:           8
        .value_kind:     global_buffer
      - .address_space:  global
        .offset:         8
        .size:           8
        .value_kind:     global_buffer
      - .address_space:  global
        .offset:         16
        .size:           8
        .value_kind:     global_buffer
      - .offset:         24
        .size:           4
        .value_kind:     by_value
      - .offset:         28
        .size:           4
        .value_kind:     by_value
      - .offset:         32
        .size:           4
        .value_kind:     by_value
      - .offset:         36
        .size:           12
        .value_kind:     by_value
      - .offset:         48
        .size:           12
        .value_kind:     by_value
      - .offset:         60
        .size:           12
        .value_kind:     by_value
      - .offset:         72
        .size:           12
        .value_kind:     by_value
      - .offset:         84
        .size:           12
        .value_kind:     by_value
      - .offset:         96
        .size:           4
        .value_kind:     by_value
      - .offset:         100
        .size:           4
        .value_kind:     by_value
      - .offset:         104
        .size:           4
        .value_kind:     by_value
      - .offset:         108
        .size:           4
        .value_kind:     by_value
      - .offset:         112
        .size:           4
        .value_kind:     by_value
      - .offset:         116
        .size:           4
        .value_kind:     by_value
      - .offset:         120
        .size:           4
        .value_kind:     by_value
      - .offset:         124
        .size:           4
        .value_kind:     by_value
      - .offset:         128
        .size:           4
        .value_kind:     by_value
      - .offset:         132
        .size:           4
        .value_kind:     by_value
      - .offset:         136
        .size:           4
        .value_kind:     by_value
      - .address_space:  global
        .offset:         144
        .size:           8
        .value_kind:     global_buffer
      - .address_space:  global
        .offset:         152
        .size:           8
        .value_kind:     global_buffer
      - .address_space:  global
        .offset:         160
        .size:           8
        .value_kind:     global_buffer
      - .address_space:  global
        .offset:         168
        .size:           8
        .value_kind:     global_buffer
      - .address_space:  global
        .offset:         176
        .size:           8
        .value_kind:     global_buffer
      - .address_space:  global
        .offset:         184
        .size:           8
        .value_kind:     global_buffer
      - .offset:         192
        .size:           4
        .value_kind:     hidden_block_count_x
      - .offset:         196
        .size:           4
        .value_kind:     hidden_block_count_y
      - .offset:         200
        .size:           4
        .value_kind:     hidden_block_count_z
      - .offset:         204
        .size:           2
        .value_kind:     hidden_group_size_x
      - .offset:         206
        .size:           2
        .value_kind:     hidden_group_size_y
      - .offset:         208
        .size:           2
        .value_kind:     hidden_group_size_z
      - .offset:         210
        .size:           2
        .value_kind:     hidden_remainder_x
      - .offset:         212
        .size:           2
        .value_kind:     hidden_remainder_y
      - .offset:         214
        .size:           2
        .value_kind:     hidden_remainder_z
      - .offset:         232
        .size:           8
        .value_kind:     hidden_global_offset_x
      - .offset:         240
        .size:           8
        .value_kind:     hidden_global_offset_y
      - .offset:         248
        .size:           8
        .value_kind:     hidden_global_offset_z
      - .offset:         256
        .size:           2
        .value_kind:     hidden_grid_dims
    .group_segment_fixed_size: 0
    .kernarg_segment_align: 8
    .kernarg_segment_size: 448
    .language:       OpenCL C
    .language_version:
      - 2
      - 0
    .max_flat_workgroup_size: 1024
    .name:           _ZL11k_bin_bcastIXadL_ZL6op_addffEEfffJPKfS1_S1_S1_S1_S1_EEvPKT0_PKT1_PT2_iii15HIP_vector_typeIjLj3EESB_SB_SB_SB_iiiiiiiiiiiDpT3_
    .private_segment_fixed_size: 0
    .sgpr_count:     48
    .sgpr_spill_count: 0
    .symbol:         _ZL11k_bin_bcastIXadL_ZL6op_addffEEfffJPKfS1_S1_S1_S1_S1_EEvPKT0_PKT1_PT2_iii15HIP_vector_typeIjLj3EESB_SB_SB_SB_iiiiiiiiiiiDpT3_.kd
    .uniform_work_group_size: 1
    .uses_dynamic_stack: false
    .vgpr_count:     33
    .vgpr_spill_count: 0
    .wavefront_size: 64
  - .args:
      - .address_space:  global
        .offset:         0
        .size:           8
        .value_kind:     global_buffer
      - .address_space:  global
        .offset:         8
        .size:           8
        .value_kind:     global_buffer
      - .address_space:  global
        .offset:         16
        .size:           8
        .value_kind:     global_buffer
      - .offset:         24
        .size:           12
        .value_kind:     by_value
      - .offset:         36
        .size:           12
        .value_kind:     by_value
      - .offset:         48
        .size:           12
        .value_kind:     by_value
      - .offset:         60
        .size:           4
        .value_kind:     by_value
      - .offset:         64
        .size:           12
        .value_kind:     by_value
      - .offset:         76
        .size:           12
        .value_kind:     by_value
      - .offset:         88
        .size:           12
        .value_kind:     by_value
      - .offset:         100
        .size:           12
        .value_kind:     by_value
      - .offset:         112
        .size:           12
        .value_kind:     by_value
      - .offset:         124
        .size:           12
        .value_kind:     by_value
      - .offset:         136
        .size:           4
        .value_kind:     by_value
      - .offset:         140
        .size:           4
        .value_kind:     by_value
      - .offset:         144
        .size:           4
        .value_kind:     by_value
      - .offset:         148
        .size:           4
        .value_kind:     by_value
      - .offset:         152
        .size:           4
        .value_kind:     by_value
      - .offset:         156
        .size:           4
        .value_kind:     by_value
      - .offset:         160
        .size:           4
        .value_kind:     by_value
      - .offset:         164
        .size:           4
        .value_kind:     by_value
      - .offset:         168
        .size:           4
        .value_kind:     by_value
      - .offset:         172
        .size:           4
        .value_kind:     by_value
      - .offset:         176
        .size:           4
        .value_kind:     by_value
      - .address_space:  global
        .offset:         184
        .size:           8
        .value_kind:     global_buffer
      - .address_space:  global
        .offset:         192
        .size:           8
        .value_kind:     global_buffer
      - .address_space:  global
        .offset:         200
        .size:           8
        .value_kind:     global_buffer
      - .address_space:  global
        .offset:         208
        .size:           8
        .value_kind:     global_buffer
      - .address_space:  global
        .offset:         216
        .size:           8
        .value_kind:     global_buffer
      - .address_space:  global
        .offset:         224
        .size:           8
        .value_kind:     global_buffer
      - .offset:         232
        .size:           4
        .value_kind:     hidden_block_count_x
      - .offset:         236
        .size:           4
        .value_kind:     hidden_block_count_y
      - .offset:         240
        .size:           4
        .value_kind:     hidden_block_count_z
      - .offset:         244
        .size:           2
        .value_kind:     hidden_group_size_x
      - .offset:         246
        .size:           2
        .value_kind:     hidden_group_size_y
      - .offset:         248
        .size:           2
        .value_kind:     hidden_group_size_z
      - .offset:         250
        .size:           2
        .value_kind:     hidden_remainder_x
      - .offset:         252
        .size:           2
        .value_kind:     hidden_remainder_y
      - .offset:         254
        .size:           2
        .value_kind:     hidden_remainder_z
      - .offset:         272
        .size:           8
        .value_kind:     hidden_global_offset_x
      - .offset:         280
        .size:           8
        .value_kind:     hidden_global_offset_y
      - .offset:         288
        .size:           8
        .value_kind:     hidden_global_offset_z
      - .offset:         296
        .size:           2
        .value_kind:     hidden_grid_dims
    .group_segment_fixed_size: 0
    .kernarg_segment_align: 8
    .kernarg_segment_size: 488
    .language:       OpenCL C
    .language_version:
      - 2
      - 0
    .max_flat_workgroup_size: 1024
    .name:           _ZL19k_bin_bcast_unravelIXadL_ZL6op_addffEE6__halfS0_S0_JPKS0_S2_S2_S2_S2_S2_EEvPKT0_PKT1_PT2_15HIP_vector_typeIjLj3EESC_SC_jSC_SC_SC_SC_SC_SC_iiiiiiiiiiiDpT3_
    .private_segment_fixed_size: 0
    .sgpr_count:     32
    .sgpr_spill_count: 0
    .symbol:         _ZL19k_bin_bcast_unravelIXadL_ZL6op_addffEE6__halfS0_S0_JPKS0_S2_S2_S2_S2_S2_EEvPKT0_PKT1_PT2_15HIP_vector_typeIjLj3EESC_SC_jSC_SC_SC_SC_SC_SC_iiiiiiiiiiiDpT3_.kd
    .uniform_work_group_size: 1
    .uses_dynamic_stack: false
    .vgpr_count:     15
    .vgpr_spill_count: 0
    .wavefront_size: 64
  - .args:
      - .address_space:  global
        .offset:         0
        .size:           8
        .value_kind:     global_buffer
      - .address_space:  global
        .offset:         8
        .size:           8
        .value_kind:     global_buffer
      - .address_space:  global
        .offset:         16
        .size:           8
        .value_kind:     global_buffer
      - .offset:         24
        .size:           4
        .value_kind:     by_value
      - .offset:         28
        .size:           4
        .value_kind:     by_value
      - .offset:         32
        .size:           4
        .value_kind:     by_value
      - .offset:         36
        .size:           12
        .value_kind:     by_value
      - .offset:         48
        .size:           12
        .value_kind:     by_value
      - .offset:         60
        .size:           12
        .value_kind:     by_value
      - .offset:         72
        .size:           12
        .value_kind:     by_value
      - .offset:         84
        .size:           12
        .value_kind:     by_value
      - .offset:         96
        .size:           4
        .value_kind:     by_value
      - .offset:         100
        .size:           4
        .value_kind:     by_value
      - .offset:         104
        .size:           4
        .value_kind:     by_value
      - .offset:         108
        .size:           4
        .value_kind:     by_value
      - .offset:         112
        .size:           4
        .value_kind:     by_value
      - .offset:         116
        .size:           4
        .value_kind:     by_value
      - .offset:         120
        .size:           4
        .value_kind:     by_value
      - .offset:         124
        .size:           4
        .value_kind:     by_value
      - .offset:         128
        .size:           4
        .value_kind:     by_value
      - .offset:         132
        .size:           4
        .value_kind:     by_value
      - .offset:         136
        .size:           4
        .value_kind:     by_value
      - .address_space:  global
        .offset:         144
        .size:           8
        .value_kind:     global_buffer
      - .address_space:  global
        .offset:         152
        .size:           8
        .value_kind:     global_buffer
      - .address_space:  global
        .offset:         160
        .size:           8
        .value_kind:     global_buffer
      - .address_space:  global
        .offset:         168
        .size:           8
        .value_kind:     global_buffer
      - .address_space:  global
        .offset:         176
        .size:           8
        .value_kind:     global_buffer
      - .address_space:  global
        .offset:         184
        .size:           8
        .value_kind:     global_buffer
      - .offset:         192
        .size:           4
        .value_kind:     hidden_block_count_x
      - .offset:         196
        .size:           4
        .value_kind:     hidden_block_count_y
      - .offset:         200
        .size:           4
        .value_kind:     hidden_block_count_z
      - .offset:         204
        .size:           2
        .value_kind:     hidden_group_size_x
      - .offset:         206
        .size:           2
        .value_kind:     hidden_group_size_y
      - .offset:         208
        .size:           2
        .value_kind:     hidden_group_size_z
      - .offset:         210
        .size:           2
        .value_kind:     hidden_remainder_x
      - .offset:         212
        .size:           2
        .value_kind:     hidden_remainder_y
      - .offset:         214
        .size:           2
        .value_kind:     hidden_remainder_z
      - .offset:         232
        .size:           8
        .value_kind:     hidden_global_offset_x
      - .offset:         240
        .size:           8
        .value_kind:     hidden_global_offset_y
      - .offset:         248
        .size:           8
        .value_kind:     hidden_global_offset_z
      - .offset:         256
        .size:           2
        .value_kind:     hidden_grid_dims
    .group_segment_fixed_size: 0
    .kernarg_segment_align: 8
    .kernarg_segment_size: 448
    .language:       OpenCL C
    .language_version:
      - 2
      - 0
    .max_flat_workgroup_size: 1024
    .name:           _ZL11k_bin_bcastIXadL_ZL6op_addffEE6__halfS0_S0_JPKS0_S2_S2_S2_S2_S2_EEvPKT0_PKT1_PT2_iii15HIP_vector_typeIjLj3EESC_SC_SC_SC_iiiiiiiiiiiDpT3_
    .private_segment_fixed_size: 0
    .sgpr_count:     48
    .sgpr_spill_count: 0
    .symbol:         _ZL11k_bin_bcastIXadL_ZL6op_addffEE6__halfS0_S0_JPKS0_S2_S2_S2_S2_S2_EEvPKT0_PKT1_PT2_iii15HIP_vector_typeIjLj3EESC_SC_SC_SC_iiiiiiiiiiiDpT3_.kd
    .uniform_work_group_size: 1
    .uses_dynamic_stack: false
    .vgpr_count:     33
    .vgpr_spill_count: 0
    .wavefront_size: 64
  - .args:
      - .address_space:  global
        .offset:         0
        .size:           8
        .value_kind:     global_buffer
      - .address_space:  global
        .offset:         8
        .size:           8
        .value_kind:     global_buffer
      - .address_space:  global
        .offset:         16
        .size:           8
        .value_kind:     global_buffer
      - .offset:         24
        .size:           12
        .value_kind:     by_value
      - .offset:         36
        .size:           12
        .value_kind:     by_value
      - .offset:         48
        .size:           12
        .value_kind:     by_value
      - .offset:         60
        .size:           4
        .value_kind:     by_value
      - .offset:         64
        .size:           12
        .value_kind:     by_value
      - .offset:         76
        .size:           12
        .value_kind:     by_value
      - .offset:         88
        .size:           12
        .value_kind:     by_value
      - .offset:         100
        .size:           12
        .value_kind:     by_value
      - .offset:         112
        .size:           12
        .value_kind:     by_value
      - .offset:         124
        .size:           12
        .value_kind:     by_value
      - .offset:         136
        .size:           4
        .value_kind:     by_value
      - .offset:         140
        .size:           4
        .value_kind:     by_value
      - .offset:         144
        .size:           4
        .value_kind:     by_value
      - .offset:         148
        .size:           4
        .value_kind:     by_value
      - .offset:         152
        .size:           4
        .value_kind:     by_value
      - .offset:         156
        .size:           4
        .value_kind:     by_value
      - .offset:         160
        .size:           4
        .value_kind:     by_value
      - .offset:         164
        .size:           4
        .value_kind:     by_value
      - .offset:         168
        .size:           4
        .value_kind:     by_value
      - .offset:         172
        .size:           4
        .value_kind:     by_value
      - .offset:         176
        .size:           4
        .value_kind:     by_value
      - .address_space:  global
        .offset:         184
        .size:           8
        .value_kind:     global_buffer
      - .address_space:  global
        .offset:         192
        .size:           8
        .value_kind:     global_buffer
      - .address_space:  global
        .offset:         200
        .size:           8
        .value_kind:     global_buffer
      - .address_space:  global
        .offset:         208
        .size:           8
        .value_kind:     global_buffer
      - .address_space:  global
        .offset:         216
        .size:           8
        .value_kind:     global_buffer
      - .address_space:  global
        .offset:         224
        .size:           8
        .value_kind:     global_buffer
      - .offset:         232
        .size:           4
        .value_kind:     hidden_block_count_x
      - .offset:         236
        .size:           4
        .value_kind:     hidden_block_count_y
      - .offset:         240
        .size:           4
        .value_kind:     hidden_block_count_z
      - .offset:         244
        .size:           2
        .value_kind:     hidden_group_size_x
      - .offset:         246
        .size:           2
        .value_kind:     hidden_group_size_y
      - .offset:         248
        .size:           2
        .value_kind:     hidden_group_size_z
      - .offset:         250
        .size:           2
        .value_kind:     hidden_remainder_x
      - .offset:         252
        .size:           2
        .value_kind:     hidden_remainder_y
      - .offset:         254
        .size:           2
        .value_kind:     hidden_remainder_z
      - .offset:         272
        .size:           8
        .value_kind:     hidden_global_offset_x
      - .offset:         280
        .size:           8
        .value_kind:     hidden_global_offset_y
      - .offset:         288
        .size:           8
        .value_kind:     hidden_global_offset_z
      - .offset:         296
        .size:           2
        .value_kind:     hidden_grid_dims
    .group_segment_fixed_size: 0
    .kernarg_segment_align: 8
    .kernarg_segment_size: 488
    .language:       OpenCL C
    .language_version:
      - 2
      - 0
    .max_flat_workgroup_size: 1024
    .name:           _ZL19k_bin_bcast_unravelIXadL_ZL6op_addffEE6__halffS0_JPKfS2_S2_S2_S2_S2_EEvPKT0_PKT1_PT2_15HIP_vector_typeIjLj3EESC_SC_jSC_SC_SC_SC_SC_SC_iiiiiiiiiiiDpT3_
    .private_segment_fixed_size: 0
    .sgpr_count:     32
    .sgpr_spill_count: 0
    .symbol:         _ZL19k_bin_bcast_unravelIXadL_ZL6op_addffEE6__halffS0_JPKfS2_S2_S2_S2_S2_EEvPKT0_PKT1_PT2_15HIP_vector_typeIjLj3EESC_SC_jSC_SC_SC_SC_SC_SC_iiiiiiiiiiiDpT3_.kd
    .uniform_work_group_size: 1
    .uses_dynamic_stack: false
    .vgpr_count:     15
    .vgpr_spill_count: 0
    .wavefront_size: 64
  - .args:
      - .address_space:  global
        .offset:         0
        .size:           8
        .value_kind:     global_buffer
      - .address_space:  global
        .offset:         8
        .size:           8
        .value_kind:     global_buffer
      - .address_space:  global
        .offset:         16
        .size:           8
        .value_kind:     global_buffer
      - .offset:         24
        .size:           4
        .value_kind:     by_value
      - .offset:         28
        .size:           4
        .value_kind:     by_value
      - .offset:         32
        .size:           4
        .value_kind:     by_value
      - .offset:         36
        .size:           12
        .value_kind:     by_value
      - .offset:         48
        .size:           12
        .value_kind:     by_value
      - .offset:         60
        .size:           12
        .value_kind:     by_value
      - .offset:         72
        .size:           12
        .value_kind:     by_value
      - .offset:         84
        .size:           12
        .value_kind:     by_value
      - .offset:         96
        .size:           4
        .value_kind:     by_value
      - .offset:         100
        .size:           4
        .value_kind:     by_value
      - .offset:         104
        .size:           4
        .value_kind:     by_value
      - .offset:         108
        .size:           4
        .value_kind:     by_value
      - .offset:         112
        .size:           4
        .value_kind:     by_value
      - .offset:         116
        .size:           4
        .value_kind:     by_value
      - .offset:         120
        .size:           4
        .value_kind:     by_value
      - .offset:         124
        .size:           4
        .value_kind:     by_value
      - .offset:         128
        .size:           4
        .value_kind:     by_value
      - .offset:         132
        .size:           4
        .value_kind:     by_value
      - .offset:         136
        .size:           4
        .value_kind:     by_value
      - .address_space:  global
        .offset:         144
        .size:           8
        .value_kind:     global_buffer
      - .address_space:  global
        .offset:         152
        .size:           8
        .value_kind:     global_buffer
      - .address_space:  global
        .offset:         160
        .size:           8
        .value_kind:     global_buffer
      - .address_space:  global
        .offset:         168
        .size:           8
        .value_kind:     global_buffer
      - .address_space:  global
        .offset:         176
        .size:           8
        .value_kind:     global_buffer
      - .address_space:  global
        .offset:         184
        .size:           8
        .value_kind:     global_buffer
      - .offset:         192
        .size:           4
        .value_kind:     hidden_block_count_x
      - .offset:         196
        .size:           4
        .value_kind:     hidden_block_count_y
      - .offset:         200
        .size:           4
        .value_kind:     hidden_block_count_z
      - .offset:         204
        .size:           2
        .value_kind:     hidden_group_size_x
      - .offset:         206
        .size:           2
        .value_kind:     hidden_group_size_y
      - .offset:         208
        .size:           2
        .value_kind:     hidden_group_size_z
      - .offset:         210
        .size:           2
        .value_kind:     hidden_remainder_x
      - .offset:         212
        .size:           2
        .value_kind:     hidden_remainder_y
      - .offset:         214
        .size:           2
        .value_kind:     hidden_remainder_z
      - .offset:         232
        .size:           8
        .value_kind:     hidden_global_offset_x
      - .offset:         240
        .size:           8
        .value_kind:     hidden_global_offset_y
      - .offset:         248
        .size:           8
        .value_kind:     hidden_global_offset_z
      - .offset:         256
        .size:           2
        .value_kind:     hidden_grid_dims
    .group_segment_fixed_size: 0
    .kernarg_segment_align: 8
    .kernarg_segment_size: 448
    .language:       OpenCL C
    .language_version:
      - 2
      - 0
    .max_flat_workgroup_size: 1024
    .name:           _ZL11k_bin_bcastIXadL_ZL6op_addffEE6__halffS0_JPKfS2_S2_S2_S2_S2_EEvPKT0_PKT1_PT2_iii15HIP_vector_typeIjLj3EESC_SC_SC_SC_iiiiiiiiiiiDpT3_
    .private_segment_fixed_size: 0
    .sgpr_count:     48
    .sgpr_spill_count: 0
    .symbol:         _ZL11k_bin_bcastIXadL_ZL6op_addffEE6__halffS0_JPKfS2_S2_S2_S2_S2_EEvPKT0_PKT1_PT2_iii15HIP_vector_typeIjLj3EESC_SC_SC_SC_iiiiiiiiiiiDpT3_.kd
    .uniform_work_group_size: 1
    .uses_dynamic_stack: false
    .vgpr_count:     33
    .vgpr_spill_count: 0
    .wavefront_size: 64
  - .args:
      - .address_space:  global
        .offset:         0
        .size:           8
        .value_kind:     global_buffer
      - .address_space:  global
        .offset:         8
        .size:           8
        .value_kind:     global_buffer
      - .address_space:  global
        .offset:         16
        .size:           8
        .value_kind:     global_buffer
      - .offset:         24
        .size:           12
        .value_kind:     by_value
      - .offset:         36
        .size:           12
        .value_kind:     by_value
      - .offset:         48
        .size:           12
        .value_kind:     by_value
      - .offset:         60
        .size:           4
        .value_kind:     by_value
      - .offset:         64
        .size:           12
        .value_kind:     by_value
      - .offset:         76
        .size:           12
        .value_kind:     by_value
      - .offset:         88
        .size:           12
        .value_kind:     by_value
      - .offset:         100
        .size:           12
        .value_kind:     by_value
      - .offset:         112
        .size:           12
        .value_kind:     by_value
      - .offset:         124
        .size:           12
        .value_kind:     by_value
      - .offset:         136
        .size:           4
        .value_kind:     by_value
      - .offset:         140
        .size:           4
        .value_kind:     by_value
      - .offset:         144
        .size:           4
        .value_kind:     by_value
      - .offset:         148
        .size:           4
        .value_kind:     by_value
      - .offset:         152
        .size:           4
        .value_kind:     by_value
      - .offset:         156
        .size:           4
        .value_kind:     by_value
      - .offset:         160
        .size:           4
        .value_kind:     by_value
      - .offset:         164
        .size:           4
        .value_kind:     by_value
      - .offset:         168
        .size:           4
        .value_kind:     by_value
      - .offset:         172
        .size:           4
        .value_kind:     by_value
      - .offset:         176
        .size:           4
        .value_kind:     by_value
      - .address_space:  global
        .offset:         184
        .size:           8
        .value_kind:     global_buffer
      - .address_space:  global
        .offset:         192
        .size:           8
        .value_kind:     global_buffer
      - .address_space:  global
        .offset:         200
        .size:           8
        .value_kind:     global_buffer
      - .address_space:  global
        .offset:         208
        .size:           8
        .value_kind:     global_buffer
      - .address_space:  global
        .offset:         216
        .size:           8
        .value_kind:     global_buffer
      - .address_space:  global
        .offset:         224
        .size:           8
        .value_kind:     global_buffer
      - .offset:         232
        .size:           4
        .value_kind:     hidden_block_count_x
      - .offset:         236
        .size:           4
        .value_kind:     hidden_block_count_y
      - .offset:         240
        .size:           4
        .value_kind:     hidden_block_count_z
      - .offset:         244
        .size:           2
        .value_kind:     hidden_group_size_x
      - .offset:         246
        .size:           2
        .value_kind:     hidden_group_size_y
      - .offset:         248
        .size:           2
        .value_kind:     hidden_group_size_z
      - .offset:         250
        .size:           2
        .value_kind:     hidden_remainder_x
      - .offset:         252
        .size:           2
        .value_kind:     hidden_remainder_y
      - .offset:         254
        .size:           2
        .value_kind:     hidden_remainder_z
      - .offset:         272
        .size:           8
        .value_kind:     hidden_global_offset_x
      - .offset:         280
        .size:           8
        .value_kind:     hidden_global_offset_y
      - .offset:         288
        .size:           8
        .value_kind:     hidden_global_offset_z
      - .offset:         296
        .size:           2
        .value_kind:     hidden_grid_dims
    .group_segment_fixed_size: 0
    .kernarg_segment_align: 8
    .kernarg_segment_size: 488
    .language:       OpenCL C
    .language_version:
      - 2
      - 0
    .max_flat_workgroup_size: 1024
    .name:           _ZL19k_bin_bcast_unravelIXadL_ZL6op_addffEE6__halfffJPKfS2_S2_S2_S2_S2_EEvPKT0_PKT1_PT2_15HIP_vector_typeIjLj3EESC_SC_jSC_SC_SC_SC_SC_SC_iiiiiiiiiiiDpT3_
    .private_segment_fixed_size: 0
    .sgpr_count:     32
    .sgpr_spill_count: 0
    .symbol:         _ZL19k_bin_bcast_unravelIXadL_ZL6op_addffEE6__halfffJPKfS2_S2_S2_S2_S2_EEvPKT0_PKT1_PT2_15HIP_vector_typeIjLj3EESC_SC_jSC_SC_SC_SC_SC_SC_iiiiiiiiiiiDpT3_.kd
    .uniform_work_group_size: 1
    .uses_dynamic_stack: false
    .vgpr_count:     15
    .vgpr_spill_count: 0
    .wavefront_size: 64
  - .args:
      - .address_space:  global
        .offset:         0
        .size:           8
        .value_kind:     global_buffer
      - .address_space:  global
        .offset:         8
        .size:           8
        .value_kind:     global_buffer
      - .address_space:  global
        .offset:         16
        .size:           8
        .value_kind:     global_buffer
      - .offset:         24
        .size:           4
        .value_kind:     by_value
      - .offset:         28
        .size:           4
        .value_kind:     by_value
      - .offset:         32
        .size:           4
        .value_kind:     by_value
      - .offset:         36
        .size:           12
        .value_kind:     by_value
      - .offset:         48
        .size:           12
        .value_kind:     by_value
      - .offset:         60
        .size:           12
        .value_kind:     by_value
      - .offset:         72
        .size:           12
        .value_kind:     by_value
      - .offset:         84
        .size:           12
        .value_kind:     by_value
      - .offset:         96
        .size:           4
        .value_kind:     by_value
      - .offset:         100
        .size:           4
        .value_kind:     by_value
      - .offset:         104
        .size:           4
        .value_kind:     by_value
      - .offset:         108
        .size:           4
        .value_kind:     by_value
      - .offset:         112
        .size:           4
        .value_kind:     by_value
      - .offset:         116
        .size:           4
        .value_kind:     by_value
      - .offset:         120
        .size:           4
        .value_kind:     by_value
      - .offset:         124
        .size:           4
        .value_kind:     by_value
      - .offset:         128
        .size:           4
        .value_kind:     by_value
      - .offset:         132
        .size:           4
        .value_kind:     by_value
      - .offset:         136
        .size:           4
        .value_kind:     by_value
      - .address_space:  global
        .offset:         144
        .size:           8
        .value_kind:     global_buffer
      - .address_space:  global
        .offset:         152
        .size:           8
        .value_kind:     global_buffer
      - .address_space:  global
        .offset:         160
        .size:           8
        .value_kind:     global_buffer
      - .address_space:  global
        .offset:         168
        .size:           8
        .value_kind:     global_buffer
      - .address_space:  global
        .offset:         176
        .size:           8
        .value_kind:     global_buffer
      - .address_space:  global
        .offset:         184
        .size:           8
        .value_kind:     global_buffer
      - .offset:         192
        .size:           4
        .value_kind:     hidden_block_count_x
      - .offset:         196
        .size:           4
        .value_kind:     hidden_block_count_y
      - .offset:         200
        .size:           4
        .value_kind:     hidden_block_count_z
      - .offset:         204
        .size:           2
        .value_kind:     hidden_group_size_x
      - .offset:         206
        .size:           2
        .value_kind:     hidden_group_size_y
      - .offset:         208
        .size:           2
        .value_kind:     hidden_group_size_z
      - .offset:         210
        .size:           2
        .value_kind:     hidden_remainder_x
      - .offset:         212
        .size:           2
        .value_kind:     hidden_remainder_y
      - .offset:         214
        .size:           2
        .value_kind:     hidden_remainder_z
      - .offset:         232
        .size:           8
        .value_kind:     hidden_global_offset_x
      - .offset:         240
        .size:           8
        .value_kind:     hidden_global_offset_y
      - .offset:         248
        .size:           8
        .value_kind:     hidden_global_offset_z
      - .offset:         256
        .size:           2
        .value_kind:     hidden_grid_dims
    .group_segment_fixed_size: 0
    .kernarg_segment_align: 8
    .kernarg_segment_size: 448
    .language:       OpenCL C
    .language_version:
      - 2
      - 0
    .max_flat_workgroup_size: 1024
    .name:           _ZL11k_bin_bcastIXadL_ZL6op_addffEE6__halfffJPKfS2_S2_S2_S2_S2_EEvPKT0_PKT1_PT2_iii15HIP_vector_typeIjLj3EESC_SC_SC_SC_iiiiiiiiiiiDpT3_
    .private_segment_fixed_size: 0
    .sgpr_count:     48
    .sgpr_spill_count: 0
    .symbol:         _ZL11k_bin_bcastIXadL_ZL6op_addffEE6__halfffJPKfS2_S2_S2_S2_S2_EEvPKT0_PKT1_PT2_iii15HIP_vector_typeIjLj3EESC_SC_SC_SC_iiiiiiiiiiiDpT3_.kd
    .uniform_work_group_size: 1
    .uses_dynamic_stack: false
    .vgpr_count:     33
    .vgpr_spill_count: 0
    .wavefront_size: 64
  - .args:
      - .address_space:  global
        .offset:         0
        .size:           8
        .value_kind:     global_buffer
      - .address_space:  global
        .offset:         8
        .size:           8
        .value_kind:     global_buffer
      - .address_space:  global
        .offset:         16
        .size:           8
        .value_kind:     global_buffer
      - .offset:         24
        .size:           12
        .value_kind:     by_value
      - .offset:         36
        .size:           12
        .value_kind:     by_value
      - .offset:         48
        .size:           12
        .value_kind:     by_value
      - .offset:         60
        .size:           4
        .value_kind:     by_value
      - .offset:         64
        .size:           12
        .value_kind:     by_value
      - .offset:         76
        .size:           12
        .value_kind:     by_value
      - .offset:         88
        .size:           12
        .value_kind:     by_value
      - .offset:         100
        .size:           12
        .value_kind:     by_value
      - .offset:         112
        .size:           12
        .value_kind:     by_value
      - .offset:         124
        .size:           12
        .value_kind:     by_value
      - .offset:         136
        .size:           4
        .value_kind:     by_value
      - .offset:         140
        .size:           4
        .value_kind:     by_value
      - .offset:         144
        .size:           4
        .value_kind:     by_value
      - .offset:         148
        .size:           4
        .value_kind:     by_value
      - .offset:         152
        .size:           4
        .value_kind:     by_value
      - .offset:         156
        .size:           4
        .value_kind:     by_value
      - .offset:         160
        .size:           4
        .value_kind:     by_value
      - .offset:         164
        .size:           4
        .value_kind:     by_value
      - .offset:         168
        .size:           4
        .value_kind:     by_value
      - .offset:         172
        .size:           4
        .value_kind:     by_value
      - .offset:         176
        .size:           4
        .value_kind:     by_value
      - .address_space:  global
        .offset:         184
        .size:           8
        .value_kind:     global_buffer
      - .address_space:  global
        .offset:         192
        .size:           8
        .value_kind:     global_buffer
      - .address_space:  global
        .offset:         200
        .size:           8
        .value_kind:     global_buffer
      - .address_space:  global
        .offset:         208
        .size:           8
        .value_kind:     global_buffer
      - .address_space:  global
        .offset:         216
        .size:           8
        .value_kind:     global_buffer
      - .address_space:  global
        .offset:         224
        .size:           8
        .value_kind:     global_buffer
      - .address_space:  global
        .offset:         232
        .size:           8
        .value_kind:     global_buffer
      - .offset:         240
        .size:           4
        .value_kind:     hidden_block_count_x
      - .offset:         244
        .size:           4
        .value_kind:     hidden_block_count_y
      - .offset:         248
        .size:           4
        .value_kind:     hidden_block_count_z
      - .offset:         252
        .size:           2
        .value_kind:     hidden_group_size_x
      - .offset:         254
        .size:           2
        .value_kind:     hidden_group_size_y
      - .offset:         256
        .size:           2
        .value_kind:     hidden_group_size_z
      - .offset:         258
        .size:           2
        .value_kind:     hidden_remainder_x
      - .offset:         260
        .size:           2
        .value_kind:     hidden_remainder_y
      - .offset:         262
        .size:           2
        .value_kind:     hidden_remainder_z
      - .offset:         280
        .size:           8
        .value_kind:     hidden_global_offset_x
      - .offset:         288
        .size:           8
        .value_kind:     hidden_global_offset_y
      - .offset:         296
        .size:           8
        .value_kind:     hidden_global_offset_z
      - .offset:         304
        .size:           2
        .value_kind:     hidden_grid_dims
    .group_segment_fixed_size: 0
    .kernarg_segment_align: 8
    .kernarg_segment_size: 496
    .language:       OpenCL C
    .language_version:
      - 2
      - 0
    .max_flat_workgroup_size: 1024
    .name:           _ZL19k_bin_bcast_unravelIXadL_ZL6op_addffEEfffJPKfS1_S1_S1_S1_S1_S1_EEvPKT0_PKT1_PT2_15HIP_vector_typeIjLj3EESB_SB_jSB_SB_SB_SB_SB_SB_iiiiiiiiiiiDpT3_
    .private_segment_fixed_size: 0
    .sgpr_count:     32
    .sgpr_spill_count: 0
    .symbol:         _ZL19k_bin_bcast_unravelIXadL_ZL6op_addffEEfffJPKfS1_S1_S1_S1_S1_S1_EEvPKT0_PKT1_PT2_15HIP_vector_typeIjLj3EESB_SB_jSB_SB_SB_SB_SB_SB_iiiiiiiiiiiDpT3_.kd
    .uniform_work_group_size: 1
    .uses_dynamic_stack: false
    .vgpr_count:     16
    .vgpr_spill_count: 0
    .wavefront_size: 64
  - .args:
      - .address_space:  global
        .offset:         0
        .size:           8
        .value_kind:     global_buffer
      - .address_space:  global
        .offset:         8
        .size:           8
        .value_kind:     global_buffer
      - .address_space:  global
        .offset:         16
        .size:           8
        .value_kind:     global_buffer
      - .offset:         24
        .size:           4
        .value_kind:     by_value
      - .offset:         28
        .size:           4
        .value_kind:     by_value
      - .offset:         32
        .size:           4
        .value_kind:     by_value
      - .offset:         36
        .size:           12
        .value_kind:     by_value
      - .offset:         48
        .size:           12
        .value_kind:     by_value
      - .offset:         60
        .size:           12
        .value_kind:     by_value
      - .offset:         72
        .size:           12
        .value_kind:     by_value
      - .offset:         84
        .size:           12
        .value_kind:     by_value
      - .offset:         96
        .size:           4
        .value_kind:     by_value
      - .offset:         100
        .size:           4
        .value_kind:     by_value
      - .offset:         104
        .size:           4
        .value_kind:     by_value
      - .offset:         108
        .size:           4
        .value_kind:     by_value
      - .offset:         112
        .size:           4
        .value_kind:     by_value
      - .offset:         116
        .size:           4
        .value_kind:     by_value
      - .offset:         120
        .size:           4
        .value_kind:     by_value
      - .offset:         124
        .size:           4
        .value_kind:     by_value
      - .offset:         128
        .size:           4
        .value_kind:     by_value
      - .offset:         132
        .size:           4
        .value_kind:     by_value
      - .offset:         136
        .size:           4
        .value_kind:     by_value
      - .address_space:  global
        .offset:         144
        .size:           8
        .value_kind:     global_buffer
      - .address_space:  global
        .offset:         152
        .size:           8
        .value_kind:     global_buffer
      - .address_space:  global
        .offset:         160
        .size:           8
        .value_kind:     global_buffer
      - .address_space:  global
        .offset:         168
        .size:           8
        .value_kind:     global_buffer
      - .address_space:  global
        .offset:         176
        .size:           8
        .value_kind:     global_buffer
      - .address_space:  global
        .offset:         184
        .size:           8
        .value_kind:     global_buffer
      - .address_space:  global
        .offset:         192
        .size:           8
        .value_kind:     global_buffer
      - .offset:         200
        .size:           4
        .value_kind:     hidden_block_count_x
      - .offset:         204
        .size:           4
        .value_kind:     hidden_block_count_y
      - .offset:         208
        .size:           4
        .value_kind:     hidden_block_count_z
      - .offset:         212
        .size:           2
        .value_kind:     hidden_group_size_x
      - .offset:         214
        .size:           2
        .value_kind:     hidden_group_size_y
      - .offset:         216
        .size:           2
        .value_kind:     hidden_group_size_z
      - .offset:         218
        .size:           2
        .value_kind:     hidden_remainder_x
      - .offset:         220
        .size:           2
        .value_kind:     hidden_remainder_y
      - .offset:         222
        .size:           2
        .value_kind:     hidden_remainder_z
      - .offset:         240
        .size:           8
        .value_kind:     hidden_global_offset_x
      - .offset:         248
        .size:           8
        .value_kind:     hidden_global_offset_y
      - .offset:         256
        .size:           8
        .value_kind:     hidden_global_offset_z
      - .offset:         264
        .size:           2
        .value_kind:     hidden_grid_dims
    .group_segment_fixed_size: 0
    .kernarg_segment_align: 8
    .kernarg_segment_size: 456
    .language:       OpenCL C
    .language_version:
      - 2
      - 0
    .max_flat_workgroup_size: 1024
    .name:           _ZL11k_bin_bcastIXadL_ZL6op_addffEEfffJPKfS1_S1_S1_S1_S1_S1_EEvPKT0_PKT1_PT2_iii15HIP_vector_typeIjLj3EESB_SB_SB_SB_iiiiiiiiiiiDpT3_
    .private_segment_fixed_size: 0
    .sgpr_count:     56
    .sgpr_spill_count: 0
    .symbol:         _ZL11k_bin_bcastIXadL_ZL6op_addffEEfffJPKfS1_S1_S1_S1_S1_S1_EEvPKT0_PKT1_PT2_iii15HIP_vector_typeIjLj3EESB_SB_SB_SB_iiiiiiiiiiiDpT3_.kd
    .uniform_work_group_size: 1
    .uses_dynamic_stack: false
    .vgpr_count:     33
    .vgpr_spill_count: 0
    .wavefront_size: 64
  - .args:
      - .address_space:  global
        .offset:         0
        .size:           8
        .value_kind:     global_buffer
      - .address_space:  global
        .offset:         8
        .size:           8
        .value_kind:     global_buffer
      - .address_space:  global
        .offset:         16
        .size:           8
        .value_kind:     global_buffer
      - .offset:         24
        .size:           12
        .value_kind:     by_value
      - .offset:         36
        .size:           12
        .value_kind:     by_value
      - .offset:         48
        .size:           12
        .value_kind:     by_value
      - .offset:         60
        .size:           4
        .value_kind:     by_value
      - .offset:         64
        .size:           12
        .value_kind:     by_value
      - .offset:         76
        .size:           12
        .value_kind:     by_value
      - .offset:         88
        .size:           12
        .value_kind:     by_value
      - .offset:         100
        .size:           12
        .value_kind:     by_value
      - .offset:         112
        .size:           12
        .value_kind:     by_value
      - .offset:         124
        .size:           12
        .value_kind:     by_value
      - .offset:         136
        .size:           4
        .value_kind:     by_value
      - .offset:         140
        .size:           4
        .value_kind:     by_value
      - .offset:         144
        .size:           4
        .value_kind:     by_value
      - .offset:         148
        .size:           4
        .value_kind:     by_value
      - .offset:         152
        .size:           4
        .value_kind:     by_value
      - .offset:         156
        .size:           4
        .value_kind:     by_value
      - .offset:         160
        .size:           4
        .value_kind:     by_value
      - .offset:         164
        .size:           4
        .value_kind:     by_value
      - .offset:         168
        .size:           4
        .value_kind:     by_value
      - .offset:         172
        .size:           4
        .value_kind:     by_value
      - .offset:         176
        .size:           4
        .value_kind:     by_value
      - .address_space:  global
        .offset:         184
        .size:           8
        .value_kind:     global_buffer
      - .address_space:  global
        .offset:         192
        .size:           8
        .value_kind:     global_buffer
      - .address_space:  global
        .offset:         200
        .size:           8
        .value_kind:     global_buffer
      - .address_space:  global
        .offset:         208
        .size:           8
        .value_kind:     global_buffer
      - .address_space:  global
        .offset:         216
        .size:           8
        .value_kind:     global_buffer
      - .address_space:  global
        .offset:         224
        .size:           8
        .value_kind:     global_buffer
      - .address_space:  global
        .offset:         232
        .size:           8
        .value_kind:     global_buffer
      - .offset:         240
        .size:           4
        .value_kind:     hidden_block_count_x
      - .offset:         244
        .size:           4
        .value_kind:     hidden_block_count_y
      - .offset:         248
        .size:           4
        .value_kind:     hidden_block_count_z
      - .offset:         252
        .size:           2
        .value_kind:     hidden_group_size_x
      - .offset:         254
        .size:           2
        .value_kind:     hidden_group_size_y
      - .offset:         256
        .size:           2
        .value_kind:     hidden_group_size_z
      - .offset:         258
        .size:           2
        .value_kind:     hidden_remainder_x
      - .offset:         260
        .size:           2
        .value_kind:     hidden_remainder_y
      - .offset:         262
        .size:           2
        .value_kind:     hidden_remainder_z
      - .offset:         280
        .size:           8
        .value_kind:     hidden_global_offset_x
      - .offset:         288
        .size:           8
        .value_kind:     hidden_global_offset_y
      - .offset:         296
        .size:           8
        .value_kind:     hidden_global_offset_z
      - .offset:         304
        .size:           2
        .value_kind:     hidden_grid_dims
    .group_segment_fixed_size: 0
    .kernarg_segment_align: 8
    .kernarg_segment_size: 496
    .language:       OpenCL C
    .language_version:
      - 2
      - 0
    .max_flat_workgroup_size: 1024
    .name:           _ZL19k_bin_bcast_unravelIXadL_ZL6op_addffEE6__halfS0_S0_JPKS0_S2_S2_S2_S2_S2_S2_EEvPKT0_PKT1_PT2_15HIP_vector_typeIjLj3EESC_SC_jSC_SC_SC_SC_SC_SC_iiiiiiiiiiiDpT3_
    .private_segment_fixed_size: 0
    .sgpr_count:     32
    .sgpr_spill_count: 0
    .symbol:         _ZL19k_bin_bcast_unravelIXadL_ZL6op_addffEE6__halfS0_S0_JPKS0_S2_S2_S2_S2_S2_S2_EEvPKT0_PKT1_PT2_15HIP_vector_typeIjLj3EESC_SC_jSC_SC_SC_SC_SC_SC_iiiiiiiiiiiDpT3_.kd
    .uniform_work_group_size: 1
    .uses_dynamic_stack: false
    .vgpr_count:     16
    .vgpr_spill_count: 0
    .wavefront_size: 64
  - .args:
      - .address_space:  global
        .offset:         0
        .size:           8
        .value_kind:     global_buffer
      - .address_space:  global
        .offset:         8
        .size:           8
        .value_kind:     global_buffer
      - .address_space:  global
        .offset:         16
        .size:           8
        .value_kind:     global_buffer
      - .offset:         24
        .size:           4
        .value_kind:     by_value
      - .offset:         28
        .size:           4
        .value_kind:     by_value
      - .offset:         32
        .size:           4
        .value_kind:     by_value
      - .offset:         36
        .size:           12
        .value_kind:     by_value
      - .offset:         48
        .size:           12
        .value_kind:     by_value
      - .offset:         60
        .size:           12
        .value_kind:     by_value
      - .offset:         72
        .size:           12
        .value_kind:     by_value
      - .offset:         84
        .size:           12
        .value_kind:     by_value
      - .offset:         96
        .size:           4
        .value_kind:     by_value
      - .offset:         100
        .size:           4
        .value_kind:     by_value
      - .offset:         104
        .size:           4
        .value_kind:     by_value
      - .offset:         108
        .size:           4
        .value_kind:     by_value
      - .offset:         112
        .size:           4
        .value_kind:     by_value
      - .offset:         116
        .size:           4
        .value_kind:     by_value
      - .offset:         120
        .size:           4
        .value_kind:     by_value
      - .offset:         124
        .size:           4
        .value_kind:     by_value
      - .offset:         128
        .size:           4
        .value_kind:     by_value
      - .offset:         132
        .size:           4
        .value_kind:     by_value
      - .offset:         136
        .size:           4
        .value_kind:     by_value
      - .address_space:  global
        .offset:         144
        .size:           8
        .value_kind:     global_buffer
      - .address_space:  global
        .offset:         152
        .size:           8
        .value_kind:     global_buffer
      - .address_space:  global
        .offset:         160
        .size:           8
        .value_kind:     global_buffer
      - .address_space:  global
        .offset:         168
        .size:           8
        .value_kind:     global_buffer
      - .address_space:  global
        .offset:         176
        .size:           8
        .value_kind:     global_buffer
      - .address_space:  global
        .offset:         184
        .size:           8
        .value_kind:     global_buffer
      - .address_space:  global
        .offset:         192
        .size:           8
        .value_kind:     global_buffer
      - .offset:         200
        .size:           4
        .value_kind:     hidden_block_count_x
      - .offset:         204
        .size:           4
        .value_kind:     hidden_block_count_y
      - .offset:         208
        .size:           4
        .value_kind:     hidden_block_count_z
      - .offset:         212
        .size:           2
        .value_kind:     hidden_group_size_x
      - .offset:         214
        .size:           2
        .value_kind:     hidden_group_size_y
      - .offset:         216
        .size:           2
        .value_kind:     hidden_group_size_z
      - .offset:         218
        .size:           2
        .value_kind:     hidden_remainder_x
      - .offset:         220
        .size:           2
        .value_kind:     hidden_remainder_y
      - .offset:         222
        .size:           2
        .value_kind:     hidden_remainder_z
      - .offset:         240
        .size:           8
        .value_kind:     hidden_global_offset_x
      - .offset:         248
        .size:           8
        .value_kind:     hidden_global_offset_y
      - .offset:         256
        .size:           8
        .value_kind:     hidden_global_offset_z
      - .offset:         264
        .size:           2
        .value_kind:     hidden_grid_dims
    .group_segment_fixed_size: 0
    .kernarg_segment_align: 8
    .kernarg_segment_size: 456
    .language:       OpenCL C
    .language_version:
      - 2
      - 0
    .max_flat_workgroup_size: 1024
    .name:           _ZL11k_bin_bcastIXadL_ZL6op_addffEE6__halfS0_S0_JPKS0_S2_S2_S2_S2_S2_S2_EEvPKT0_PKT1_PT2_iii15HIP_vector_typeIjLj3EESC_SC_SC_SC_iiiiiiiiiiiDpT3_
    .private_segment_fixed_size: 0
    .sgpr_count:     56
    .sgpr_spill_count: 0
    .symbol:         _ZL11k_bin_bcastIXadL_ZL6op_addffEE6__halfS0_S0_JPKS0_S2_S2_S2_S2_S2_S2_EEvPKT0_PKT1_PT2_iii15HIP_vector_typeIjLj3EESC_SC_SC_SC_iiiiiiiiiiiDpT3_.kd
    .uniform_work_group_size: 1
    .uses_dynamic_stack: false
    .vgpr_count:     33
    .vgpr_spill_count: 0
    .wavefront_size: 64
  - .args:
      - .address_space:  global
        .offset:         0
        .size:           8
        .value_kind:     global_buffer
      - .address_space:  global
        .offset:         8
        .size:           8
        .value_kind:     global_buffer
      - .address_space:  global
        .offset:         16
        .size:           8
        .value_kind:     global_buffer
      - .offset:         24
        .size:           12
        .value_kind:     by_value
      - .offset:         36
        .size:           12
        .value_kind:     by_value
      - .offset:         48
        .size:           12
        .value_kind:     by_value
      - .offset:         60
        .size:           4
        .value_kind:     by_value
      - .offset:         64
        .size:           12
        .value_kind:     by_value
      - .offset:         76
        .size:           12
        .value_kind:     by_value
      - .offset:         88
        .size:           12
        .value_kind:     by_value
      - .offset:         100
        .size:           12
        .value_kind:     by_value
      - .offset:         112
        .size:           12
        .value_kind:     by_value
      - .offset:         124
        .size:           12
        .value_kind:     by_value
      - .offset:         136
        .size:           4
        .value_kind:     by_value
      - .offset:         140
        .size:           4
        .value_kind:     by_value
      - .offset:         144
        .size:           4
        .value_kind:     by_value
      - .offset:         148
        .size:           4
        .value_kind:     by_value
      - .offset:         152
        .size:           4
        .value_kind:     by_value
      - .offset:         156
        .size:           4
        .value_kind:     by_value
      - .offset:         160
        .size:           4
        .value_kind:     by_value
      - .offset:         164
        .size:           4
        .value_kind:     by_value
      - .offset:         168
        .size:           4
        .value_kind:     by_value
      - .offset:         172
        .size:           4
        .value_kind:     by_value
      - .offset:         176
        .size:           4
        .value_kind:     by_value
      - .address_space:  global
        .offset:         184
        .size:           8
        .value_kind:     global_buffer
      - .address_space:  global
        .offset:         192
        .size:           8
        .value_kind:     global_buffer
      - .address_space:  global
        .offset:         200
        .size:           8
        .value_kind:     global_buffer
      - .address_space:  global
        .offset:         208
        .size:           8
        .value_kind:     global_buffer
      - .address_space:  global
        .offset:         216
        .size:           8
        .value_kind:     global_buffer
      - .address_space:  global
        .offset:         224
        .size:           8
        .value_kind:     global_buffer
      - .address_space:  global
        .offset:         232
        .size:           8
        .value_kind:     global_buffer
      - .offset:         240
        .size:           4
        .value_kind:     hidden_block_count_x
      - .offset:         244
        .size:           4
        .value_kind:     hidden_block_count_y
      - .offset:         248
        .size:           4
        .value_kind:     hidden_block_count_z
      - .offset:         252
        .size:           2
        .value_kind:     hidden_group_size_x
      - .offset:         254
        .size:           2
        .value_kind:     hidden_group_size_y
      - .offset:         256
        .size:           2
        .value_kind:     hidden_group_size_z
      - .offset:         258
        .size:           2
        .value_kind:     hidden_remainder_x
      - .offset:         260
        .size:           2
        .value_kind:     hidden_remainder_y
      - .offset:         262
        .size:           2
        .value_kind:     hidden_remainder_z
      - .offset:         280
        .size:           8
        .value_kind:     hidden_global_offset_x
      - .offset:         288
        .size:           8
        .value_kind:     hidden_global_offset_y
      - .offset:         296
        .size:           8
        .value_kind:     hidden_global_offset_z
      - .offset:         304
        .size:           2
        .value_kind:     hidden_grid_dims
    .group_segment_fixed_size: 0
    .kernarg_segment_align: 8
    .kernarg_segment_size: 496
    .language:       OpenCL C
    .language_version:
      - 2
      - 0
    .max_flat_workgroup_size: 1024
    .name:           _ZL19k_bin_bcast_unravelIXadL_ZL6op_addffEE6__halffS0_JPKfS2_S2_S2_S2_S2_S2_EEvPKT0_PKT1_PT2_15HIP_vector_typeIjLj3EESC_SC_jSC_SC_SC_SC_SC_SC_iiiiiiiiiiiDpT3_
    .private_segment_fixed_size: 0
    .sgpr_count:     32
    .sgpr_spill_count: 0
    .symbol:         _ZL19k_bin_bcast_unravelIXadL_ZL6op_addffEE6__halffS0_JPKfS2_S2_S2_S2_S2_S2_EEvPKT0_PKT1_PT2_15HIP_vector_typeIjLj3EESC_SC_jSC_SC_SC_SC_SC_SC_iiiiiiiiiiiDpT3_.kd
    .uniform_work_group_size: 1
    .uses_dynamic_stack: false
    .vgpr_count:     16
    .vgpr_spill_count: 0
    .wavefront_size: 64
  - .args:
      - .address_space:  global
        .offset:         0
        .size:           8
        .value_kind:     global_buffer
      - .address_space:  global
        .offset:         8
        .size:           8
        .value_kind:     global_buffer
      - .address_space:  global
        .offset:         16
        .size:           8
        .value_kind:     global_buffer
      - .offset:         24
        .size:           4
        .value_kind:     by_value
      - .offset:         28
        .size:           4
        .value_kind:     by_value
      - .offset:         32
        .size:           4
        .value_kind:     by_value
      - .offset:         36
        .size:           12
        .value_kind:     by_value
      - .offset:         48
        .size:           12
        .value_kind:     by_value
      - .offset:         60
        .size:           12
        .value_kind:     by_value
      - .offset:         72
        .size:           12
        .value_kind:     by_value
      - .offset:         84
        .size:           12
        .value_kind:     by_value
      - .offset:         96
        .size:           4
        .value_kind:     by_value
      - .offset:         100
        .size:           4
        .value_kind:     by_value
      - .offset:         104
        .size:           4
        .value_kind:     by_value
      - .offset:         108
        .size:           4
        .value_kind:     by_value
      - .offset:         112
        .size:           4
        .value_kind:     by_value
      - .offset:         116
        .size:           4
        .value_kind:     by_value
      - .offset:         120
        .size:           4
        .value_kind:     by_value
      - .offset:         124
        .size:           4
        .value_kind:     by_value
      - .offset:         128
        .size:           4
        .value_kind:     by_value
      - .offset:         132
        .size:           4
        .value_kind:     by_value
      - .offset:         136
        .size:           4
        .value_kind:     by_value
      - .address_space:  global
        .offset:         144
        .size:           8
        .value_kind:     global_buffer
      - .address_space:  global
        .offset:         152
        .size:           8
        .value_kind:     global_buffer
      - .address_space:  global
        .offset:         160
        .size:           8
        .value_kind:     global_buffer
      - .address_space:  global
        .offset:         168
        .size:           8
        .value_kind:     global_buffer
      - .address_space:  global
        .offset:         176
        .size:           8
        .value_kind:     global_buffer
      - .address_space:  global
        .offset:         184
        .size:           8
        .value_kind:     global_buffer
      - .address_space:  global
        .offset:         192
        .size:           8
        .value_kind:     global_buffer
      - .offset:         200
        .size:           4
        .value_kind:     hidden_block_count_x
      - .offset:         204
        .size:           4
        .value_kind:     hidden_block_count_y
      - .offset:         208
        .size:           4
        .value_kind:     hidden_block_count_z
      - .offset:         212
        .size:           2
        .value_kind:     hidden_group_size_x
      - .offset:         214
        .size:           2
        .value_kind:     hidden_group_size_y
      - .offset:         216
        .size:           2
        .value_kind:     hidden_group_size_z
      - .offset:         218
        .size:           2
        .value_kind:     hidden_remainder_x
      - .offset:         220
        .size:           2
        .value_kind:     hidden_remainder_y
      - .offset:         222
        .size:           2
        .value_kind:     hidden_remainder_z
      - .offset:         240
        .size:           8
        .value_kind:     hidden_global_offset_x
      - .offset:         248
        .size:           8
        .value_kind:     hidden_global_offset_y
      - .offset:         256
        .size:           8
        .value_kind:     hidden_global_offset_z
      - .offset:         264
        .size:           2
        .value_kind:     hidden_grid_dims
    .group_segment_fixed_size: 0
    .kernarg_segment_align: 8
    .kernarg_segment_size: 456
    .language:       OpenCL C
    .language_version:
      - 2
      - 0
    .max_flat_workgroup_size: 1024
    .name:           _ZL11k_bin_bcastIXadL_ZL6op_addffEE6__halffS0_JPKfS2_S2_S2_S2_S2_S2_EEvPKT0_PKT1_PT2_iii15HIP_vector_typeIjLj3EESC_SC_SC_SC_iiiiiiiiiiiDpT3_
    .private_segment_fixed_size: 0
    .sgpr_count:     56
    .sgpr_spill_count: 0
    .symbol:         _ZL11k_bin_bcastIXadL_ZL6op_addffEE6__halffS0_JPKfS2_S2_S2_S2_S2_S2_EEvPKT0_PKT1_PT2_iii15HIP_vector_typeIjLj3EESC_SC_SC_SC_iiiiiiiiiiiDpT3_.kd
    .uniform_work_group_size: 1
    .uses_dynamic_stack: false
    .vgpr_count:     33
    .vgpr_spill_count: 0
    .wavefront_size: 64
  - .args:
      - .address_space:  global
        .offset:         0
        .size:           8
        .value_kind:     global_buffer
      - .address_space:  global
        .offset:         8
        .size:           8
        .value_kind:     global_buffer
      - .address_space:  global
        .offset:         16
        .size:           8
        .value_kind:     global_buffer
      - .offset:         24
        .size:           12
        .value_kind:     by_value
      - .offset:         36
        .size:           12
        .value_kind:     by_value
      - .offset:         48
        .size:           12
        .value_kind:     by_value
      - .offset:         60
        .size:           4
        .value_kind:     by_value
      - .offset:         64
        .size:           12
        .value_kind:     by_value
      - .offset:         76
        .size:           12
        .value_kind:     by_value
      - .offset:         88
        .size:           12
        .value_kind:     by_value
      - .offset:         100
        .size:           12
        .value_kind:     by_value
      - .offset:         112
        .size:           12
        .value_kind:     by_value
      - .offset:         124
        .size:           12
        .value_kind:     by_value
      - .offset:         136
        .size:           4
        .value_kind:     by_value
      - .offset:         140
        .size:           4
        .value_kind:     by_value
      - .offset:         144
        .size:           4
        .value_kind:     by_value
      - .offset:         148
        .size:           4
        .value_kind:     by_value
      - .offset:         152
        .size:           4
        .value_kind:     by_value
      - .offset:         156
        .size:           4
        .value_kind:     by_value
      - .offset:         160
        .size:           4
        .value_kind:     by_value
      - .offset:         164
        .size:           4
        .value_kind:     by_value
      - .offset:         168
        .size:           4
        .value_kind:     by_value
      - .offset:         172
        .size:           4
        .value_kind:     by_value
      - .offset:         176
        .size:           4
        .value_kind:     by_value
      - .address_space:  global
        .offset:         184
        .size:           8
        .value_kind:     global_buffer
      - .address_space:  global
        .offset:         192
        .size:           8
        .value_kind:     global_buffer
      - .address_space:  global
        .offset:         200
        .size:           8
        .value_kind:     global_buffer
      - .address_space:  global
        .offset:         208
        .size:           8
        .value_kind:     global_buffer
      - .address_space:  global
        .offset:         216
        .size:           8
        .value_kind:     global_buffer
      - .address_space:  global
        .offset:         224
        .size:           8
        .value_kind:     global_buffer
      - .address_space:  global
        .offset:         232
        .size:           8
        .value_kind:     global_buffer
      - .offset:         240
        .size:           4
        .value_kind:     hidden_block_count_x
      - .offset:         244
        .size:           4
        .value_kind:     hidden_block_count_y
      - .offset:         248
        .size:           4
        .value_kind:     hidden_block_count_z
      - .offset:         252
        .size:           2
        .value_kind:     hidden_group_size_x
      - .offset:         254
        .size:           2
        .value_kind:     hidden_group_size_y
      - .offset:         256
        .size:           2
        .value_kind:     hidden_group_size_z
      - .offset:         258
        .size:           2
        .value_kind:     hidden_remainder_x
      - .offset:         260
        .size:           2
        .value_kind:     hidden_remainder_y
      - .offset:         262
        .size:           2
        .value_kind:     hidden_remainder_z
      - .offset:         280
        .size:           8
        .value_kind:     hidden_global_offset_x
      - .offset:         288
        .size:           8
        .value_kind:     hidden_global_offset_y
      - .offset:         296
        .size:           8
        .value_kind:     hidden_global_offset_z
      - .offset:         304
        .size:           2
        .value_kind:     hidden_grid_dims
    .group_segment_fixed_size: 0
    .kernarg_segment_align: 8
    .kernarg_segment_size: 496
    .language:       OpenCL C
    .language_version:
      - 2
      - 0
    .max_flat_workgroup_size: 1024
    .name:           _ZL19k_bin_bcast_unravelIXadL_ZL6op_addffEE6__halfffJPKfS2_S2_S2_S2_S2_S2_EEvPKT0_PKT1_PT2_15HIP_vector_typeIjLj3EESC_SC_jSC_SC_SC_SC_SC_SC_iiiiiiiiiiiDpT3_
    .private_segment_fixed_size: 0
    .sgpr_count:     32
    .sgpr_spill_count: 0
    .symbol:         _ZL19k_bin_bcast_unravelIXadL_ZL6op_addffEE6__halfffJPKfS2_S2_S2_S2_S2_S2_EEvPKT0_PKT1_PT2_15HIP_vector_typeIjLj3EESC_SC_jSC_SC_SC_SC_SC_SC_iiiiiiiiiiiDpT3_.kd
    .uniform_work_group_size: 1
    .uses_dynamic_stack: false
    .vgpr_count:     16
    .vgpr_spill_count: 0
    .wavefront_size: 64
  - .args:
      - .address_space:  global
        .offset:         0
        .size:           8
        .value_kind:     global_buffer
      - .address_space:  global
        .offset:         8
        .size:           8
        .value_kind:     global_buffer
      - .address_space:  global
        .offset:         16
        .size:           8
        .value_kind:     global_buffer
      - .offset:         24
        .size:           4
        .value_kind:     by_value
      - .offset:         28
        .size:           4
        .value_kind:     by_value
      - .offset:         32
        .size:           4
        .value_kind:     by_value
      - .offset:         36
        .size:           12
        .value_kind:     by_value
      - .offset:         48
        .size:           12
        .value_kind:     by_value
      - .offset:         60
        .size:           12
        .value_kind:     by_value
      - .offset:         72
        .size:           12
        .value_kind:     by_value
      - .offset:         84
        .size:           12
        .value_kind:     by_value
      - .offset:         96
        .size:           4
        .value_kind:     by_value
      - .offset:         100
        .size:           4
        .value_kind:     by_value
      - .offset:         104
        .size:           4
        .value_kind:     by_value
      - .offset:         108
        .size:           4
        .value_kind:     by_value
      - .offset:         112
        .size:           4
        .value_kind:     by_value
      - .offset:         116
        .size:           4
        .value_kind:     by_value
      - .offset:         120
        .size:           4
        .value_kind:     by_value
      - .offset:         124
        .size:           4
        .value_kind:     by_value
      - .offset:         128
        .size:           4
        .value_kind:     by_value
      - .offset:         132
        .size:           4
        .value_kind:     by_value
      - .offset:         136
        .size:           4
        .value_kind:     by_value
      - .address_space:  global
        .offset:         144
        .size:           8
        .value_kind:     global_buffer
      - .address_space:  global
        .offset:         152
        .size:           8
        .value_kind:     global_buffer
      - .address_space:  global
        .offset:         160
        .size:           8
        .value_kind:     global_buffer
      - .address_space:  global
        .offset:         168
        .size:           8
        .value_kind:     global_buffer
      - .address_space:  global
        .offset:         176
        .size:           8
        .value_kind:     global_buffer
      - .address_space:  global
        .offset:         184
        .size:           8
        .value_kind:     global_buffer
      - .address_space:  global
        .offset:         192
        .size:           8
        .value_kind:     global_buffer
      - .offset:         200
        .size:           4
        .value_kind:     hidden_block_count_x
      - .offset:         204
        .size:           4
        .value_kind:     hidden_block_count_y
      - .offset:         208
        .size:           4
        .value_kind:     hidden_block_count_z
      - .offset:         212
        .size:           2
        .value_kind:     hidden_group_size_x
      - .offset:         214
        .size:           2
        .value_kind:     hidden_group_size_y
      - .offset:         216
        .size:           2
        .value_kind:     hidden_group_size_z
      - .offset:         218
        .size:           2
        .value_kind:     hidden_remainder_x
      - .offset:         220
        .size:           2
        .value_kind:     hidden_remainder_y
      - .offset:         222
        .size:           2
        .value_kind:     hidden_remainder_z
      - .offset:         240
        .size:           8
        .value_kind:     hidden_global_offset_x
      - .offset:         248
        .size:           8
        .value_kind:     hidden_global_offset_y
      - .offset:         256
        .size:           8
        .value_kind:     hidden_global_offset_z
      - .offset:         264
        .size:           2
        .value_kind:     hidden_grid_dims
    .group_segment_fixed_size: 0
    .kernarg_segment_align: 8
    .kernarg_segment_size: 456
    .language:       OpenCL C
    .language_version:
      - 2
      - 0
    .max_flat_workgroup_size: 1024
    .name:           _ZL11k_bin_bcastIXadL_ZL6op_addffEE6__halfffJPKfS2_S2_S2_S2_S2_S2_EEvPKT0_PKT1_PT2_iii15HIP_vector_typeIjLj3EESC_SC_SC_SC_iiiiiiiiiiiDpT3_
    .private_segment_fixed_size: 0
    .sgpr_count:     56
    .sgpr_spill_count: 0
    .symbol:         _ZL11k_bin_bcastIXadL_ZL6op_addffEE6__halfffJPKfS2_S2_S2_S2_S2_S2_EEvPKT0_PKT1_PT2_iii15HIP_vector_typeIjLj3EESC_SC_SC_SC_iiiiiiiiiiiDpT3_.kd
    .uniform_work_group_size: 1
    .uses_dynamic_stack: false
    .vgpr_count:     33
    .vgpr_spill_count: 0
    .wavefront_size: 64
  - .args:
      - .address_space:  global
        .offset:         0
        .size:           8
        .value_kind:     global_buffer
      - .address_space:  global
        .offset:         8
        .size:           8
        .value_kind:     global_buffer
      - .address_space:  global
        .offset:         16
        .size:           8
        .value_kind:     global_buffer
      - .offset:         24
        .size:           12
        .value_kind:     by_value
      - .offset:         36
        .size:           12
        .value_kind:     by_value
      - .offset:         48
        .size:           12
        .value_kind:     by_value
      - .offset:         60
        .size:           4
        .value_kind:     by_value
      - .offset:         64
        .size:           12
        .value_kind:     by_value
      - .offset:         76
        .size:           12
        .value_kind:     by_value
      - .offset:         88
        .size:           12
        .value_kind:     by_value
      - .offset:         100
        .size:           12
        .value_kind:     by_value
      - .offset:         112
        .size:           12
        .value_kind:     by_value
      - .offset:         124
        .size:           12
        .value_kind:     by_value
      - .offset:         136
        .size:           4
        .value_kind:     by_value
      - .offset:         140
        .size:           4
        .value_kind:     by_value
      - .offset:         144
        .size:           4
        .value_kind:     by_value
      - .offset:         148
        .size:           4
        .value_kind:     by_value
      - .offset:         152
        .size:           4
        .value_kind:     by_value
      - .offset:         156
        .size:           4
        .value_kind:     by_value
      - .offset:         160
        .size:           4
        .value_kind:     by_value
      - .offset:         164
        .size:           4
        .value_kind:     by_value
      - .offset:         168
        .size:           4
        .value_kind:     by_value
      - .offset:         172
        .size:           4
        .value_kind:     by_value
      - .offset:         176
        .size:           4
        .value_kind:     by_value
      - .address_space:  global
        .offset:         184
        .size:           8
        .value_kind:     global_buffer
      - .address_space:  global
        .offset:         192
        .size:           8
        .value_kind:     global_buffer
      - .address_space:  global
        .offset:         200
        .size:           8
        .value_kind:     global_buffer
      - .address_space:  global
        .offset:         208
        .size:           8
        .value_kind:     global_buffer
      - .address_space:  global
        .offset:         216
        .size:           8
        .value_kind:     global_buffer
      - .address_space:  global
        .offset:         224
        .size:           8
        .value_kind:     global_buffer
      - .address_space:  global
        .offset:         232
        .size:           8
        .value_kind:     global_buffer
      - .address_space:  global
        .offset:         240
        .size:           8
        .value_kind:     global_buffer
      - .offset:         248
        .size:           4
        .value_kind:     hidden_block_count_x
      - .offset:         252
        .size:           4
        .value_kind:     hidden_block_count_y
      - .offset:         256
        .size:           4
        .value_kind:     hidden_block_count_z
      - .offset:         260
        .size:           2
        .value_kind:     hidden_group_size_x
      - .offset:         262
        .size:           2
        .value_kind:     hidden_group_size_y
      - .offset:         264
        .size:           2
        .value_kind:     hidden_group_size_z
      - .offset:         266
        .size:           2
        .value_kind:     hidden_remainder_x
      - .offset:         268
        .size:           2
        .value_kind:     hidden_remainder_y
      - .offset:         270
        .size:           2
        .value_kind:     hidden_remainder_z
      - .offset:         288
        .size:           8
        .value_kind:     hidden_global_offset_x
      - .offset:         296
        .size:           8
        .value_kind:     hidden_global_offset_y
      - .offset:         304
        .size:           8
        .value_kind:     hidden_global_offset_z
      - .offset:         312
        .size:           2
        .value_kind:     hidden_grid_dims
    .group_segment_fixed_size: 0
    .kernarg_segment_align: 8
    .kernarg_segment_size: 504
    .language:       OpenCL C
    .language_version:
      - 2
      - 0
    .max_flat_workgroup_size: 1024
    .name:           _ZL19k_bin_bcast_unravelIXadL_ZL6op_addffEEfffJPKfS1_S1_S1_S1_S1_S1_S1_EEvPKT0_PKT1_PT2_15HIP_vector_typeIjLj3EESB_SB_jSB_SB_SB_SB_SB_SB_iiiiiiiiiiiDpT3_
    .private_segment_fixed_size: 0
    .sgpr_count:     36
    .sgpr_spill_count: 0
    .symbol:         _ZL19k_bin_bcast_unravelIXadL_ZL6op_addffEEfffJPKfS1_S1_S1_S1_S1_S1_S1_EEvPKT0_PKT1_PT2_15HIP_vector_typeIjLj3EESB_SB_jSB_SB_SB_SB_SB_SB_iiiiiiiiiiiDpT3_.kd
    .uniform_work_group_size: 1
    .uses_dynamic_stack: false
    .vgpr_count:     17
    .vgpr_spill_count: 0
    .wavefront_size: 64
  - .args:
      - .address_space:  global
        .offset:         0
        .size:           8
        .value_kind:     global_buffer
      - .address_space:  global
        .offset:         8
        .size:           8
        .value_kind:     global_buffer
      - .address_space:  global
        .offset:         16
        .size:           8
        .value_kind:     global_buffer
      - .offset:         24
        .size:           4
        .value_kind:     by_value
      - .offset:         28
        .size:           4
        .value_kind:     by_value
      - .offset:         32
        .size:           4
        .value_kind:     by_value
      - .offset:         36
        .size:           12
        .value_kind:     by_value
      - .offset:         48
        .size:           12
        .value_kind:     by_value
      - .offset:         60
        .size:           12
        .value_kind:     by_value
      - .offset:         72
        .size:           12
        .value_kind:     by_value
      - .offset:         84
        .size:           12
        .value_kind:     by_value
      - .offset:         96
        .size:           4
        .value_kind:     by_value
      - .offset:         100
        .size:           4
        .value_kind:     by_value
      - .offset:         104
        .size:           4
        .value_kind:     by_value
      - .offset:         108
        .size:           4
        .value_kind:     by_value
      - .offset:         112
        .size:           4
        .value_kind:     by_value
      - .offset:         116
        .size:           4
        .value_kind:     by_value
      - .offset:         120
        .size:           4
        .value_kind:     by_value
      - .offset:         124
        .size:           4
        .value_kind:     by_value
      - .offset:         128
        .size:           4
        .value_kind:     by_value
      - .offset:         132
        .size:           4
        .value_kind:     by_value
      - .offset:         136
        .size:           4
        .value_kind:     by_value
      - .address_space:  global
        .offset:         144
        .size:           8
        .value_kind:     global_buffer
      - .address_space:  global
        .offset:         152
        .size:           8
        .value_kind:     global_buffer
      - .address_space:  global
        .offset:         160
        .size:           8
        .value_kind:     global_buffer
      - .address_space:  global
        .offset:         168
        .size:           8
        .value_kind:     global_buffer
      - .address_space:  global
        .offset:         176
        .size:           8
        .value_kind:     global_buffer
      - .address_space:  global
        .offset:         184
        .size:           8
        .value_kind:     global_buffer
      - .address_space:  global
        .offset:         192
        .size:           8
        .value_kind:     global_buffer
      - .address_space:  global
        .offset:         200
        .size:           8
        .value_kind:     global_buffer
      - .offset:         208
        .size:           4
        .value_kind:     hidden_block_count_x
      - .offset:         212
        .size:           4
        .value_kind:     hidden_block_count_y
      - .offset:         216
        .size:           4
        .value_kind:     hidden_block_count_z
      - .offset:         220
        .size:           2
        .value_kind:     hidden_group_size_x
      - .offset:         222
        .size:           2
        .value_kind:     hidden_group_size_y
      - .offset:         224
        .size:           2
        .value_kind:     hidden_group_size_z
      - .offset:         226
        .size:           2
        .value_kind:     hidden_remainder_x
      - .offset:         228
        .size:           2
        .value_kind:     hidden_remainder_y
      - .offset:         230
        .size:           2
        .value_kind:     hidden_remainder_z
      - .offset:         248
        .size:           8
        .value_kind:     hidden_global_offset_x
      - .offset:         256
        .size:           8
        .value_kind:     hidden_global_offset_y
      - .offset:         264
        .size:           8
        .value_kind:     hidden_global_offset_z
      - .offset:         272
        .size:           2
        .value_kind:     hidden_grid_dims
    .group_segment_fixed_size: 0
    .kernarg_segment_align: 8
    .kernarg_segment_size: 464
    .language:       OpenCL C
    .language_version:
      - 2
      - 0
    .max_flat_workgroup_size: 1024
    .name:           _ZL11k_bin_bcastIXadL_ZL6op_addffEEfffJPKfS1_S1_S1_S1_S1_S1_S1_EEvPKT0_PKT1_PT2_iii15HIP_vector_typeIjLj3EESB_SB_SB_SB_iiiiiiiiiiiDpT3_
    .private_segment_fixed_size: 0
    .sgpr_count:     48
    .sgpr_spill_count: 0
    .symbol:         _ZL11k_bin_bcastIXadL_ZL6op_addffEEfffJPKfS1_S1_S1_S1_S1_S1_S1_EEvPKT0_PKT1_PT2_iii15HIP_vector_typeIjLj3EESB_SB_SB_SB_iiiiiiiiiiiDpT3_.kd
    .uniform_work_group_size: 1
    .uses_dynamic_stack: false
    .vgpr_count:     33
    .vgpr_spill_count: 0
    .wavefront_size: 64
  - .args:
      - .address_space:  global
        .offset:         0
        .size:           8
        .value_kind:     global_buffer
      - .address_space:  global
        .offset:         8
        .size:           8
        .value_kind:     global_buffer
      - .address_space:  global
        .offset:         16
        .size:           8
        .value_kind:     global_buffer
      - .offset:         24
        .size:           12
        .value_kind:     by_value
      - .offset:         36
        .size:           12
        .value_kind:     by_value
      - .offset:         48
        .size:           12
        .value_kind:     by_value
      - .offset:         60
        .size:           4
        .value_kind:     by_value
      - .offset:         64
        .size:           12
        .value_kind:     by_value
      - .offset:         76
        .size:           12
        .value_kind:     by_value
      - .offset:         88
        .size:           12
        .value_kind:     by_value
      - .offset:         100
        .size:           12
        .value_kind:     by_value
      - .offset:         112
        .size:           12
        .value_kind:     by_value
      - .offset:         124
        .size:           12
        .value_kind:     by_value
      - .offset:         136
        .size:           4
        .value_kind:     by_value
      - .offset:         140
        .size:           4
        .value_kind:     by_value
      - .offset:         144
        .size:           4
        .value_kind:     by_value
      - .offset:         148
        .size:           4
        .value_kind:     by_value
      - .offset:         152
        .size:           4
        .value_kind:     by_value
      - .offset:         156
        .size:           4
        .value_kind:     by_value
      - .offset:         160
        .size:           4
        .value_kind:     by_value
      - .offset:         164
        .size:           4
        .value_kind:     by_value
      - .offset:         168
        .size:           4
        .value_kind:     by_value
      - .offset:         172
        .size:           4
        .value_kind:     by_value
      - .offset:         176
        .size:           4
        .value_kind:     by_value
      - .address_space:  global
        .offset:         184
        .size:           8
        .value_kind:     global_buffer
      - .address_space:  global
        .offset:         192
        .size:           8
        .value_kind:     global_buffer
      - .address_space:  global
        .offset:         200
        .size:           8
        .value_kind:     global_buffer
      - .address_space:  global
        .offset:         208
        .size:           8
        .value_kind:     global_buffer
      - .address_space:  global
        .offset:         216
        .size:           8
        .value_kind:     global_buffer
      - .address_space:  global
        .offset:         224
        .size:           8
        .value_kind:     global_buffer
      - .address_space:  global
        .offset:         232
        .size:           8
        .value_kind:     global_buffer
      - .address_space:  global
        .offset:         240
        .size:           8
        .value_kind:     global_buffer
      - .offset:         248
        .size:           4
        .value_kind:     hidden_block_count_x
      - .offset:         252
        .size:           4
        .value_kind:     hidden_block_count_y
      - .offset:         256
        .size:           4
        .value_kind:     hidden_block_count_z
      - .offset:         260
        .size:           2
        .value_kind:     hidden_group_size_x
      - .offset:         262
        .size:           2
        .value_kind:     hidden_group_size_y
      - .offset:         264
        .size:           2
        .value_kind:     hidden_group_size_z
      - .offset:         266
        .size:           2
        .value_kind:     hidden_remainder_x
      - .offset:         268
        .size:           2
        .value_kind:     hidden_remainder_y
      - .offset:         270
        .size:           2
        .value_kind:     hidden_remainder_z
      - .offset:         288
        .size:           8
        .value_kind:     hidden_global_offset_x
      - .offset:         296
        .size:           8
        .value_kind:     hidden_global_offset_y
      - .offset:         304
        .size:           8
        .value_kind:     hidden_global_offset_z
      - .offset:         312
        .size:           2
        .value_kind:     hidden_grid_dims
    .group_segment_fixed_size: 0
    .kernarg_segment_align: 8
    .kernarg_segment_size: 504
    .language:       OpenCL C
    .language_version:
      - 2
      - 0
    .max_flat_workgroup_size: 1024
    .name:           _ZL19k_bin_bcast_unravelIXadL_ZL6op_addffEE6__halfS0_S0_JPKS0_S2_S2_S2_S2_S2_S2_S2_EEvPKT0_PKT1_PT2_15HIP_vector_typeIjLj3EESC_SC_jSC_SC_SC_SC_SC_SC_iiiiiiiiiiiDpT3_
    .private_segment_fixed_size: 0
    .sgpr_count:     36
    .sgpr_spill_count: 0
    .symbol:         _ZL19k_bin_bcast_unravelIXadL_ZL6op_addffEE6__halfS0_S0_JPKS0_S2_S2_S2_S2_S2_S2_S2_EEvPKT0_PKT1_PT2_15HIP_vector_typeIjLj3EESC_SC_jSC_SC_SC_SC_SC_SC_iiiiiiiiiiiDpT3_.kd
    .uniform_work_group_size: 1
    .uses_dynamic_stack: false
    .vgpr_count:     17
    .vgpr_spill_count: 0
    .wavefront_size: 64
  - .args:
      - .address_space:  global
        .offset:         0
        .size:           8
        .value_kind:     global_buffer
      - .address_space:  global
        .offset:         8
        .size:           8
        .value_kind:     global_buffer
      - .address_space:  global
        .offset:         16
        .size:           8
        .value_kind:     global_buffer
      - .offset:         24
        .size:           4
        .value_kind:     by_value
      - .offset:         28
        .size:           4
        .value_kind:     by_value
      - .offset:         32
        .size:           4
        .value_kind:     by_value
      - .offset:         36
        .size:           12
        .value_kind:     by_value
      - .offset:         48
        .size:           12
        .value_kind:     by_value
      - .offset:         60
        .size:           12
        .value_kind:     by_value
      - .offset:         72
        .size:           12
        .value_kind:     by_value
      - .offset:         84
        .size:           12
        .value_kind:     by_value
      - .offset:         96
        .size:           4
        .value_kind:     by_value
      - .offset:         100
        .size:           4
        .value_kind:     by_value
      - .offset:         104
        .size:           4
        .value_kind:     by_value
      - .offset:         108
        .size:           4
        .value_kind:     by_value
      - .offset:         112
        .size:           4
        .value_kind:     by_value
      - .offset:         116
        .size:           4
        .value_kind:     by_value
      - .offset:         120
        .size:           4
        .value_kind:     by_value
      - .offset:         124
        .size:           4
        .value_kind:     by_value
      - .offset:         128
        .size:           4
        .value_kind:     by_value
      - .offset:         132
        .size:           4
        .value_kind:     by_value
      - .offset:         136
        .size:           4
        .value_kind:     by_value
      - .address_space:  global
        .offset:         144
        .size:           8
        .value_kind:     global_buffer
      - .address_space:  global
        .offset:         152
        .size:           8
        .value_kind:     global_buffer
      - .address_space:  global
        .offset:         160
        .size:           8
        .value_kind:     global_buffer
      - .address_space:  global
        .offset:         168
        .size:           8
        .value_kind:     global_buffer
      - .address_space:  global
        .offset:         176
        .size:           8
        .value_kind:     global_buffer
      - .address_space:  global
        .offset:         184
        .size:           8
        .value_kind:     global_buffer
      - .address_space:  global
        .offset:         192
        .size:           8
        .value_kind:     global_buffer
      - .address_space:  global
        .offset:         200
        .size:           8
        .value_kind:     global_buffer
      - .offset:         208
        .size:           4
        .value_kind:     hidden_block_count_x
      - .offset:         212
        .size:           4
        .value_kind:     hidden_block_count_y
      - .offset:         216
        .size:           4
        .value_kind:     hidden_block_count_z
      - .offset:         220
        .size:           2
        .value_kind:     hidden_group_size_x
      - .offset:         222
        .size:           2
        .value_kind:     hidden_group_size_y
      - .offset:         224
        .size:           2
        .value_kind:     hidden_group_size_z
      - .offset:         226
        .size:           2
        .value_kind:     hidden_remainder_x
      - .offset:         228
        .size:           2
        .value_kind:     hidden_remainder_y
      - .offset:         230
        .size:           2
        .value_kind:     hidden_remainder_z
      - .offset:         248
        .size:           8
        .value_kind:     hidden_global_offset_x
      - .offset:         256
        .size:           8
        .value_kind:     hidden_global_offset_y
      - .offset:         264
        .size:           8
        .value_kind:     hidden_global_offset_z
      - .offset:         272
        .size:           2
        .value_kind:     hidden_grid_dims
    .group_segment_fixed_size: 0
    .kernarg_segment_align: 8
    .kernarg_segment_size: 464
    .language:       OpenCL C
    .language_version:
      - 2
      - 0
    .max_flat_workgroup_size: 1024
    .name:           _ZL11k_bin_bcastIXadL_ZL6op_addffEE6__halfS0_S0_JPKS0_S2_S2_S2_S2_S2_S2_S2_EEvPKT0_PKT1_PT2_iii15HIP_vector_typeIjLj3EESC_SC_SC_SC_iiiiiiiiiiiDpT3_
    .private_segment_fixed_size: 0
    .sgpr_count:     48
    .sgpr_spill_count: 0
    .symbol:         _ZL11k_bin_bcastIXadL_ZL6op_addffEE6__halfS0_S0_JPKS0_S2_S2_S2_S2_S2_S2_S2_EEvPKT0_PKT1_PT2_iii15HIP_vector_typeIjLj3EESC_SC_SC_SC_iiiiiiiiiiiDpT3_.kd
    .uniform_work_group_size: 1
    .uses_dynamic_stack: false
    .vgpr_count:     33
    .vgpr_spill_count: 0
    .wavefront_size: 64
  - .args:
      - .address_space:  global
        .offset:         0
        .size:           8
        .value_kind:     global_buffer
      - .address_space:  global
        .offset:         8
        .size:           8
        .value_kind:     global_buffer
      - .address_space:  global
        .offset:         16
        .size:           8
        .value_kind:     global_buffer
      - .offset:         24
        .size:           12
        .value_kind:     by_value
      - .offset:         36
        .size:           12
        .value_kind:     by_value
      - .offset:         48
        .size:           12
        .value_kind:     by_value
      - .offset:         60
        .size:           4
        .value_kind:     by_value
      - .offset:         64
        .size:           12
        .value_kind:     by_value
      - .offset:         76
        .size:           12
        .value_kind:     by_value
      - .offset:         88
        .size:           12
        .value_kind:     by_value
      - .offset:         100
        .size:           12
        .value_kind:     by_value
      - .offset:         112
        .size:           12
        .value_kind:     by_value
      - .offset:         124
        .size:           12
        .value_kind:     by_value
      - .offset:         136
        .size:           4
        .value_kind:     by_value
      - .offset:         140
        .size:           4
        .value_kind:     by_value
      - .offset:         144
        .size:           4
        .value_kind:     by_value
      - .offset:         148
        .size:           4
        .value_kind:     by_value
      - .offset:         152
        .size:           4
        .value_kind:     by_value
      - .offset:         156
        .size:           4
        .value_kind:     by_value
      - .offset:         160
        .size:           4
        .value_kind:     by_value
      - .offset:         164
        .size:           4
        .value_kind:     by_value
      - .offset:         168
        .size:           4
        .value_kind:     by_value
      - .offset:         172
        .size:           4
        .value_kind:     by_value
      - .offset:         176
        .size:           4
        .value_kind:     by_value
      - .address_space:  global
        .offset:         184
        .size:           8
        .value_kind:     global_buffer
      - .address_space:  global
        .offset:         192
        .size:           8
        .value_kind:     global_buffer
      - .address_space:  global
        .offset:         200
        .size:           8
        .value_kind:     global_buffer
      - .address_space:  global
        .offset:         208
        .size:           8
        .value_kind:     global_buffer
      - .address_space:  global
        .offset:         216
        .size:           8
        .value_kind:     global_buffer
      - .address_space:  global
        .offset:         224
        .size:           8
        .value_kind:     global_buffer
      - .address_space:  global
        .offset:         232
        .size:           8
        .value_kind:     global_buffer
      - .address_space:  global
        .offset:         240
        .size:           8
        .value_kind:     global_buffer
      - .offset:         248
        .size:           4
        .value_kind:     hidden_block_count_x
      - .offset:         252
        .size:           4
        .value_kind:     hidden_block_count_y
      - .offset:         256
        .size:           4
        .value_kind:     hidden_block_count_z
      - .offset:         260
        .size:           2
        .value_kind:     hidden_group_size_x
      - .offset:         262
        .size:           2
        .value_kind:     hidden_group_size_y
      - .offset:         264
        .size:           2
        .value_kind:     hidden_group_size_z
      - .offset:         266
        .size:           2
        .value_kind:     hidden_remainder_x
      - .offset:         268
        .size:           2
        .value_kind:     hidden_remainder_y
      - .offset:         270
        .size:           2
        .value_kind:     hidden_remainder_z
      - .offset:         288
        .size:           8
        .value_kind:     hidden_global_offset_x
      - .offset:         296
        .size:           8
        .value_kind:     hidden_global_offset_y
      - .offset:         304
        .size:           8
        .value_kind:     hidden_global_offset_z
      - .offset:         312
        .size:           2
        .value_kind:     hidden_grid_dims
    .group_segment_fixed_size: 0
    .kernarg_segment_align: 8
    .kernarg_segment_size: 504
    .language:       OpenCL C
    .language_version:
      - 2
      - 0
    .max_flat_workgroup_size: 1024
    .name:           _ZL19k_bin_bcast_unravelIXadL_ZL6op_addffEE6__halffS0_JPKfS2_S2_S2_S2_S2_S2_S2_EEvPKT0_PKT1_PT2_15HIP_vector_typeIjLj3EESC_SC_jSC_SC_SC_SC_SC_SC_iiiiiiiiiiiDpT3_
    .private_segment_fixed_size: 0
    .sgpr_count:     36
    .sgpr_spill_count: 0
    .symbol:         _ZL19k_bin_bcast_unravelIXadL_ZL6op_addffEE6__halffS0_JPKfS2_S2_S2_S2_S2_S2_S2_EEvPKT0_PKT1_PT2_15HIP_vector_typeIjLj3EESC_SC_jSC_SC_SC_SC_SC_SC_iiiiiiiiiiiDpT3_.kd
    .uniform_work_group_size: 1
    .uses_dynamic_stack: false
    .vgpr_count:     17
    .vgpr_spill_count: 0
    .wavefront_size: 64
  - .args:
      - .address_space:  global
        .offset:         0
        .size:           8
        .value_kind:     global_buffer
      - .address_space:  global
        .offset:         8
        .size:           8
        .value_kind:     global_buffer
      - .address_space:  global
        .offset:         16
        .size:           8
        .value_kind:     global_buffer
      - .offset:         24
        .size:           4
        .value_kind:     by_value
      - .offset:         28
        .size:           4
        .value_kind:     by_value
      - .offset:         32
        .size:           4
        .value_kind:     by_value
      - .offset:         36
        .size:           12
        .value_kind:     by_value
      - .offset:         48
        .size:           12
        .value_kind:     by_value
      - .offset:         60
        .size:           12
        .value_kind:     by_value
      - .offset:         72
        .size:           12
        .value_kind:     by_value
      - .offset:         84
        .size:           12
        .value_kind:     by_value
      - .offset:         96
        .size:           4
        .value_kind:     by_value
      - .offset:         100
        .size:           4
        .value_kind:     by_value
      - .offset:         104
        .size:           4
        .value_kind:     by_value
      - .offset:         108
        .size:           4
        .value_kind:     by_value
      - .offset:         112
        .size:           4
        .value_kind:     by_value
      - .offset:         116
        .size:           4
        .value_kind:     by_value
      - .offset:         120
        .size:           4
        .value_kind:     by_value
      - .offset:         124
        .size:           4
        .value_kind:     by_value
      - .offset:         128
        .size:           4
        .value_kind:     by_value
      - .offset:         132
        .size:           4
        .value_kind:     by_value
      - .offset:         136
        .size:           4
        .value_kind:     by_value
      - .address_space:  global
        .offset:         144
        .size:           8
        .value_kind:     global_buffer
      - .address_space:  global
        .offset:         152
        .size:           8
        .value_kind:     global_buffer
      - .address_space:  global
        .offset:         160
        .size:           8
        .value_kind:     global_buffer
      - .address_space:  global
        .offset:         168
        .size:           8
        .value_kind:     global_buffer
      - .address_space:  global
        .offset:         176
        .size:           8
        .value_kind:     global_buffer
      - .address_space:  global
        .offset:         184
        .size:           8
        .value_kind:     global_buffer
      - .address_space:  global
        .offset:         192
        .size:           8
        .value_kind:     global_buffer
      - .address_space:  global
        .offset:         200
        .size:           8
        .value_kind:     global_buffer
      - .offset:         208
        .size:           4
        .value_kind:     hidden_block_count_x
      - .offset:         212
        .size:           4
        .value_kind:     hidden_block_count_y
      - .offset:         216
        .size:           4
        .value_kind:     hidden_block_count_z
      - .offset:         220
        .size:           2
        .value_kind:     hidden_group_size_x
      - .offset:         222
        .size:           2
        .value_kind:     hidden_group_size_y
      - .offset:         224
        .size:           2
        .value_kind:     hidden_group_size_z
      - .offset:         226
        .size:           2
        .value_kind:     hidden_remainder_x
      - .offset:         228
        .size:           2
        .value_kind:     hidden_remainder_y
      - .offset:         230
        .size:           2
        .value_kind:     hidden_remainder_z
      - .offset:         248
        .size:           8
        .value_kind:     hidden_global_offset_x
      - .offset:         256
        .size:           8
        .value_kind:     hidden_global_offset_y
      - .offset:         264
        .size:           8
        .value_kind:     hidden_global_offset_z
      - .offset:         272
        .size:           2
        .value_kind:     hidden_grid_dims
    .group_segment_fixed_size: 0
    .kernarg_segment_align: 8
    .kernarg_segment_size: 464
    .language:       OpenCL C
    .language_version:
      - 2
      - 0
    .max_flat_workgroup_size: 1024
    .name:           _ZL11k_bin_bcastIXadL_ZL6op_addffEE6__halffS0_JPKfS2_S2_S2_S2_S2_S2_S2_EEvPKT0_PKT1_PT2_iii15HIP_vector_typeIjLj3EESC_SC_SC_SC_iiiiiiiiiiiDpT3_
    .private_segment_fixed_size: 0
    .sgpr_count:     48
    .sgpr_spill_count: 0
    .symbol:         _ZL11k_bin_bcastIXadL_ZL6op_addffEE6__halffS0_JPKfS2_S2_S2_S2_S2_S2_S2_EEvPKT0_PKT1_PT2_iii15HIP_vector_typeIjLj3EESC_SC_SC_SC_iiiiiiiiiiiDpT3_.kd
    .uniform_work_group_size: 1
    .uses_dynamic_stack: false
    .vgpr_count:     33
    .vgpr_spill_count: 0
    .wavefront_size: 64
  - .args:
      - .address_space:  global
        .offset:         0
        .size:           8
        .value_kind:     global_buffer
      - .address_space:  global
        .offset:         8
        .size:           8
        .value_kind:     global_buffer
      - .address_space:  global
        .offset:         16
        .size:           8
        .value_kind:     global_buffer
      - .offset:         24
        .size:           12
        .value_kind:     by_value
      - .offset:         36
        .size:           12
        .value_kind:     by_value
      - .offset:         48
        .size:           12
        .value_kind:     by_value
      - .offset:         60
        .size:           4
        .value_kind:     by_value
      - .offset:         64
        .size:           12
        .value_kind:     by_value
      - .offset:         76
        .size:           12
        .value_kind:     by_value
      - .offset:         88
        .size:           12
        .value_kind:     by_value
      - .offset:         100
        .size:           12
        .value_kind:     by_value
      - .offset:         112
        .size:           12
        .value_kind:     by_value
      - .offset:         124
        .size:           12
        .value_kind:     by_value
      - .offset:         136
        .size:           4
        .value_kind:     by_value
      - .offset:         140
        .size:           4
        .value_kind:     by_value
      - .offset:         144
        .size:           4
        .value_kind:     by_value
      - .offset:         148
        .size:           4
        .value_kind:     by_value
      - .offset:         152
        .size:           4
        .value_kind:     by_value
      - .offset:         156
        .size:           4
        .value_kind:     by_value
      - .offset:         160
        .size:           4
        .value_kind:     by_value
      - .offset:         164
        .size:           4
        .value_kind:     by_value
      - .offset:         168
        .size:           4
        .value_kind:     by_value
      - .offset:         172
        .size:           4
        .value_kind:     by_value
      - .offset:         176
        .size:           4
        .value_kind:     by_value
      - .address_space:  global
        .offset:         184
        .size:           8
        .value_kind:     global_buffer
      - .address_space:  global
        .offset:         192
        .size:           8
        .value_kind:     global_buffer
      - .address_space:  global
        .offset:         200
        .size:           8
        .value_kind:     global_buffer
      - .address_space:  global
        .offset:         208
        .size:           8
        .value_kind:     global_buffer
      - .address_space:  global
        .offset:         216
        .size:           8
        .value_kind:     global_buffer
      - .address_space:  global
        .offset:         224
        .size:           8
        .value_kind:     global_buffer
      - .address_space:  global
        .offset:         232
        .size:           8
        .value_kind:     global_buffer
      - .address_space:  global
        .offset:         240
        .size:           8
        .value_kind:     global_buffer
      - .offset:         248
        .size:           4
        .value_kind:     hidden_block_count_x
      - .offset:         252
        .size:           4
        .value_kind:     hidden_block_count_y
      - .offset:         256
        .size:           4
        .value_kind:     hidden_block_count_z
      - .offset:         260
        .size:           2
        .value_kind:     hidden_group_size_x
      - .offset:         262
        .size:           2
        .value_kind:     hidden_group_size_y
      - .offset:         264
        .size:           2
        .value_kind:     hidden_group_size_z
      - .offset:         266
        .size:           2
        .value_kind:     hidden_remainder_x
      - .offset:         268
        .size:           2
        .value_kind:     hidden_remainder_y
      - .offset:         270
        .size:           2
        .value_kind:     hidden_remainder_z
      - .offset:         288
        .size:           8
        .value_kind:     hidden_global_offset_x
      - .offset:         296
        .size:           8
        .value_kind:     hidden_global_offset_y
      - .offset:         304
        .size:           8
        .value_kind:     hidden_global_offset_z
      - .offset:         312
        .size:           2
        .value_kind:     hidden_grid_dims
    .group_segment_fixed_size: 0
    .kernarg_segment_align: 8
    .kernarg_segment_size: 504
    .language:       OpenCL C
    .language_version:
      - 2
      - 0
    .max_flat_workgroup_size: 1024
    .name:           _ZL19k_bin_bcast_unravelIXadL_ZL6op_addffEE6__halfffJPKfS2_S2_S2_S2_S2_S2_S2_EEvPKT0_PKT1_PT2_15HIP_vector_typeIjLj3EESC_SC_jSC_SC_SC_SC_SC_SC_iiiiiiiiiiiDpT3_
    .private_segment_fixed_size: 0
    .sgpr_count:     36
    .sgpr_spill_count: 0
    .symbol:         _ZL19k_bin_bcast_unravelIXadL_ZL6op_addffEE6__halfffJPKfS2_S2_S2_S2_S2_S2_S2_EEvPKT0_PKT1_PT2_15HIP_vector_typeIjLj3EESC_SC_jSC_SC_SC_SC_SC_SC_iiiiiiiiiiiDpT3_.kd
    .uniform_work_group_size: 1
    .uses_dynamic_stack: false
    .vgpr_count:     17
    .vgpr_spill_count: 0
    .wavefront_size: 64
  - .args:
      - .address_space:  global
        .offset:         0
        .size:           8
        .value_kind:     global_buffer
      - .address_space:  global
        .offset:         8
        .size:           8
        .value_kind:     global_buffer
      - .address_space:  global
        .offset:         16
        .size:           8
        .value_kind:     global_buffer
      - .offset:         24
        .size:           4
        .value_kind:     by_value
      - .offset:         28
        .size:           4
        .value_kind:     by_value
      - .offset:         32
        .size:           4
        .value_kind:     by_value
      - .offset:         36
        .size:           12
        .value_kind:     by_value
      - .offset:         48
        .size:           12
        .value_kind:     by_value
      - .offset:         60
        .size:           12
        .value_kind:     by_value
      - .offset:         72
        .size:           12
        .value_kind:     by_value
      - .offset:         84
        .size:           12
        .value_kind:     by_value
      - .offset:         96
        .size:           4
        .value_kind:     by_value
      - .offset:         100
        .size:           4
        .value_kind:     by_value
      - .offset:         104
        .size:           4
        .value_kind:     by_value
      - .offset:         108
        .size:           4
        .value_kind:     by_value
      - .offset:         112
        .size:           4
        .value_kind:     by_value
      - .offset:         116
        .size:           4
        .value_kind:     by_value
      - .offset:         120
        .size:           4
        .value_kind:     by_value
      - .offset:         124
        .size:           4
        .value_kind:     by_value
      - .offset:         128
        .size:           4
        .value_kind:     by_value
      - .offset:         132
        .size:           4
        .value_kind:     by_value
      - .offset:         136
        .size:           4
        .value_kind:     by_value
      - .address_space:  global
        .offset:         144
        .size:           8
        .value_kind:     global_buffer
      - .address_space:  global
        .offset:         152
        .size:           8
        .value_kind:     global_buffer
      - .address_space:  global
        .offset:         160
        .size:           8
        .value_kind:     global_buffer
      - .address_space:  global
        .offset:         168
        .size:           8
        .value_kind:     global_buffer
      - .address_space:  global
        .offset:         176
        .size:           8
        .value_kind:     global_buffer
      - .address_space:  global
        .offset:         184
        .size:           8
        .value_kind:     global_buffer
      - .address_space:  global
        .offset:         192
        .size:           8
        .value_kind:     global_buffer
      - .address_space:  global
        .offset:         200
        .size:           8
        .value_kind:     global_buffer
      - .offset:         208
        .size:           4
        .value_kind:     hidden_block_count_x
      - .offset:         212
        .size:           4
        .value_kind:     hidden_block_count_y
      - .offset:         216
        .size:           4
        .value_kind:     hidden_block_count_z
      - .offset:         220
        .size:           2
        .value_kind:     hidden_group_size_x
      - .offset:         222
        .size:           2
        .value_kind:     hidden_group_size_y
      - .offset:         224
        .size:           2
        .value_kind:     hidden_group_size_z
      - .offset:         226
        .size:           2
        .value_kind:     hidden_remainder_x
      - .offset:         228
        .size:           2
        .value_kind:     hidden_remainder_y
      - .offset:         230
        .size:           2
        .value_kind:     hidden_remainder_z
      - .offset:         248
        .size:           8
        .value_kind:     hidden_global_offset_x
      - .offset:         256
        .size:           8
        .value_kind:     hidden_global_offset_y
      - .offset:         264
        .size:           8
        .value_kind:     hidden_global_offset_z
      - .offset:         272
        .size:           2
        .value_kind:     hidden_grid_dims
    .group_segment_fixed_size: 0
    .kernarg_segment_align: 8
    .kernarg_segment_size: 464
    .language:       OpenCL C
    .language_version:
      - 2
      - 0
    .max_flat_workgroup_size: 1024
    .name:           _ZL11k_bin_bcastIXadL_ZL6op_addffEE6__halfffJPKfS2_S2_S2_S2_S2_S2_S2_EEvPKT0_PKT1_PT2_iii15HIP_vector_typeIjLj3EESC_SC_SC_SC_iiiiiiiiiiiDpT3_
    .private_segment_fixed_size: 0
    .sgpr_count:     48
    .sgpr_spill_count: 0
    .symbol:         _ZL11k_bin_bcastIXadL_ZL6op_addffEE6__halfffJPKfS2_S2_S2_S2_S2_S2_S2_EEvPKT0_PKT1_PT2_iii15HIP_vector_typeIjLj3EESC_SC_SC_SC_iiiiiiiiiiiDpT3_.kd
    .uniform_work_group_size: 1
    .uses_dynamic_stack: false
    .vgpr_count:     33
    .vgpr_spill_count: 0
    .wavefront_size: 64
  - .args:
      - .address_space:  global
        .offset:         0
        .size:           8
        .value_kind:     global_buffer
      - .address_space:  global
        .offset:         8
        .size:           8
        .value_kind:     global_buffer
      - .address_space:  global
        .offset:         16
        .size:           8
        .value_kind:     global_buffer
      - .offset:         24
        .size:           12
        .value_kind:     by_value
      - .offset:         36
        .size:           12
        .value_kind:     by_value
      - .offset:         48
        .size:           12
        .value_kind:     by_value
      - .offset:         60
        .size:           4
        .value_kind:     by_value
      - .offset:         64
        .size:           12
        .value_kind:     by_value
      - .offset:         76
        .size:           12
        .value_kind:     by_value
      - .offset:         88
        .size:           12
        .value_kind:     by_value
      - .offset:         100
        .size:           12
        .value_kind:     by_value
      - .offset:         112
        .size:           12
        .value_kind:     by_value
      - .offset:         124
        .size:           12
        .value_kind:     by_value
      - .offset:         136
        .size:           4
        .value_kind:     by_value
      - .offset:         140
        .size:           4
        .value_kind:     by_value
      - .offset:         144
        .size:           4
        .value_kind:     by_value
      - .offset:         148
        .size:           4
        .value_kind:     by_value
      - .offset:         152
        .size:           4
        .value_kind:     by_value
      - .offset:         156
        .size:           4
        .value_kind:     by_value
      - .offset:         160
        .size:           4
        .value_kind:     by_value
      - .offset:         164
        .size:           4
        .value_kind:     by_value
      - .offset:         168
        .size:           4
        .value_kind:     by_value
      - .offset:         172
        .size:           4
        .value_kind:     by_value
      - .offset:         176
        .size:           4
        .value_kind:     by_value
      - .address_space:  global
        .offset:         184
        .size:           8
        .value_kind:     global_buffer
      - .address_space:  global
        .offset:         192
        .size:           8
        .value_kind:     global_buffer
      - .offset:         200
        .size:           4
        .value_kind:     hidden_block_count_x
      - .offset:         204
        .size:           4
        .value_kind:     hidden_block_count_y
      - .offset:         208
        .size:           4
        .value_kind:     hidden_block_count_z
      - .offset:         212
        .size:           2
        .value_kind:     hidden_group_size_x
      - .offset:         214
        .size:           2
        .value_kind:     hidden_group_size_y
      - .offset:         216
        .size:           2
        .value_kind:     hidden_group_size_z
      - .offset:         218
        .size:           2
        .value_kind:     hidden_remainder_x
      - .offset:         220
        .size:           2
        .value_kind:     hidden_remainder_y
      - .offset:         222
        .size:           2
        .value_kind:     hidden_remainder_z
      - .offset:         240
        .size:           8
        .value_kind:     hidden_global_offset_x
      - .offset:         248
        .size:           8
        .value_kind:     hidden_global_offset_y
      - .offset:         256
        .size:           8
        .value_kind:     hidden_global_offset_z
      - .offset:         264
        .size:           2
        .value_kind:     hidden_grid_dims
    .group_segment_fixed_size: 0
    .kernarg_segment_align: 8
    .kernarg_segment_size: 456
    .language:       OpenCL C
    .language_version:
      - 2
      - 0
    .max_flat_workgroup_size: 1024
    .name:           _ZL19k_bin_bcast_unravelIXadL_ZL6op_mulffEEfffJPKfS1_EEvPKT0_PKT1_PT2_15HIP_vector_typeIjLj3EESB_SB_jSB_SB_SB_SB_SB_SB_iiiiiiiiiiiDpT3_
    .private_segment_fixed_size: 0
    .sgpr_count:     32
    .sgpr_spill_count: 0
    .symbol:         _ZL19k_bin_bcast_unravelIXadL_ZL6op_mulffEEfffJPKfS1_EEvPKT0_PKT1_PT2_15HIP_vector_typeIjLj3EESB_SB_jSB_SB_SB_SB_SB_SB_iiiiiiiiiiiDpT3_.kd
    .uniform_work_group_size: 1
    .uses_dynamic_stack: false
    .vgpr_count:     11
    .vgpr_spill_count: 0
    .wavefront_size: 64
  - .args:
      - .address_space:  global
        .offset:         0
        .size:           8
        .value_kind:     global_buffer
      - .address_space:  global
        .offset:         8
        .size:           8
        .value_kind:     global_buffer
      - .address_space:  global
        .offset:         16
        .size:           8
        .value_kind:     global_buffer
      - .offset:         24
        .size:           4
        .value_kind:     by_value
      - .offset:         28
        .size:           4
        .value_kind:     by_value
      - .offset:         32
        .size:           4
        .value_kind:     by_value
      - .offset:         36
        .size:           12
        .value_kind:     by_value
      - .offset:         48
        .size:           12
        .value_kind:     by_value
      - .offset:         60
        .size:           12
        .value_kind:     by_value
      - .offset:         72
        .size:           12
        .value_kind:     by_value
      - .offset:         84
        .size:           12
        .value_kind:     by_value
      - .offset:         96
        .size:           4
        .value_kind:     by_value
      - .offset:         100
        .size:           4
        .value_kind:     by_value
      - .offset:         104
        .size:           4
        .value_kind:     by_value
      - .offset:         108
        .size:           4
        .value_kind:     by_value
      - .offset:         112
        .size:           4
        .value_kind:     by_value
      - .offset:         116
        .size:           4
        .value_kind:     by_value
      - .offset:         120
        .size:           4
        .value_kind:     by_value
      - .offset:         124
        .size:           4
        .value_kind:     by_value
      - .offset:         128
        .size:           4
        .value_kind:     by_value
      - .offset:         132
        .size:           4
        .value_kind:     by_value
      - .offset:         136
        .size:           4
        .value_kind:     by_value
      - .address_space:  global
        .offset:         144
        .size:           8
        .value_kind:     global_buffer
      - .address_space:  global
        .offset:         152
        .size:           8
        .value_kind:     global_buffer
      - .offset:         160
        .size:           4
        .value_kind:     hidden_block_count_x
      - .offset:         164
        .size:           4
        .value_kind:     hidden_block_count_y
      - .offset:         168
        .size:           4
        .value_kind:     hidden_block_count_z
      - .offset:         172
        .size:           2
        .value_kind:     hidden_group_size_x
      - .offset:         174
        .size:           2
        .value_kind:     hidden_group_size_y
      - .offset:         176
        .size:           2
        .value_kind:     hidden_group_size_z
      - .offset:         178
        .size:           2
        .value_kind:     hidden_remainder_x
      - .offset:         180
        .size:           2
        .value_kind:     hidden_remainder_y
      - .offset:         182
        .size:           2
        .value_kind:     hidden_remainder_z
      - .offset:         200
        .size:           8
        .value_kind:     hidden_global_offset_x
      - .offset:         208
        .size:           8
        .value_kind:     hidden_global_offset_y
      - .offset:         216
        .size:           8
        .value_kind:     hidden_global_offset_z
      - .offset:         224
        .size:           2
        .value_kind:     hidden_grid_dims
    .group_segment_fixed_size: 0
    .kernarg_segment_align: 8
    .kernarg_segment_size: 416
    .language:       OpenCL C
    .language_version:
      - 2
      - 0
    .max_flat_workgroup_size: 1024
    .name:           _ZL11k_bin_bcastIXadL_ZL6op_mulffEEfffJPKfS1_EEvPKT0_PKT1_PT2_iii15HIP_vector_typeIjLj3EESB_SB_SB_SB_iiiiiiiiiiiDpT3_
    .private_segment_fixed_size: 0
    .sgpr_count:     56
    .sgpr_spill_count: 0
    .symbol:         _ZL11k_bin_bcastIXadL_ZL6op_mulffEEfffJPKfS1_EEvPKT0_PKT1_PT2_iii15HIP_vector_typeIjLj3EESB_SB_SB_SB_iiiiiiiiiiiDpT3_.kd
    .uniform_work_group_size: 1
    .uses_dynamic_stack: false
    .vgpr_count:     15
    .vgpr_spill_count: 0
    .wavefront_size: 64
  - .args:
      - .address_space:  global
        .offset:         0
        .size:           8
        .value_kind:     global_buffer
      - .address_space:  global
        .offset:         8
        .size:           8
        .value_kind:     global_buffer
      - .address_space:  global
        .offset:         16
        .size:           8
        .value_kind:     global_buffer
      - .offset:         24
        .size:           12
        .value_kind:     by_value
      - .offset:         36
        .size:           12
        .value_kind:     by_value
      - .offset:         48
        .size:           12
        .value_kind:     by_value
      - .offset:         60
        .size:           4
        .value_kind:     by_value
      - .offset:         64
        .size:           12
        .value_kind:     by_value
      - .offset:         76
        .size:           12
        .value_kind:     by_value
      - .offset:         88
        .size:           12
        .value_kind:     by_value
      - .offset:         100
        .size:           12
        .value_kind:     by_value
      - .offset:         112
        .size:           12
        .value_kind:     by_value
      - .offset:         124
        .size:           12
        .value_kind:     by_value
      - .offset:         136
        .size:           4
        .value_kind:     by_value
      - .offset:         140
        .size:           4
        .value_kind:     by_value
      - .offset:         144
        .size:           4
        .value_kind:     by_value
      - .offset:         148
        .size:           4
        .value_kind:     by_value
      - .offset:         152
        .size:           4
        .value_kind:     by_value
      - .offset:         156
        .size:           4
        .value_kind:     by_value
      - .offset:         160
        .size:           4
        .value_kind:     by_value
      - .offset:         164
        .size:           4
        .value_kind:     by_value
      - .offset:         168
        .size:           4
        .value_kind:     by_value
      - .offset:         172
        .size:           4
        .value_kind:     by_value
      - .offset:         176
        .size:           4
        .value_kind:     by_value
      - .address_space:  global
        .offset:         184
        .size:           8
        .value_kind:     global_buffer
      - .address_space:  global
        .offset:         192
        .size:           8
        .value_kind:     global_buffer
      - .offset:         200
        .size:           4
        .value_kind:     hidden_block_count_x
      - .offset:         204
        .size:           4
        .value_kind:     hidden_block_count_y
      - .offset:         208
        .size:           4
        .value_kind:     hidden_block_count_z
      - .offset:         212
        .size:           2
        .value_kind:     hidden_group_size_x
      - .offset:         214
        .size:           2
        .value_kind:     hidden_group_size_y
      - .offset:         216
        .size:           2
        .value_kind:     hidden_group_size_z
      - .offset:         218
        .size:           2
        .value_kind:     hidden_remainder_x
      - .offset:         220
        .size:           2
        .value_kind:     hidden_remainder_y
      - .offset:         222
        .size:           2
        .value_kind:     hidden_remainder_z
      - .offset:         240
        .size:           8
        .value_kind:     hidden_global_offset_x
      - .offset:         248
        .size:           8
        .value_kind:     hidden_global_offset_y
      - .offset:         256
        .size:           8
        .value_kind:     hidden_global_offset_z
      - .offset:         264
        .size:           2
        .value_kind:     hidden_grid_dims
    .group_segment_fixed_size: 0
    .kernarg_segment_align: 8
    .kernarg_segment_size: 456
    .language:       OpenCL C
    .language_version:
      - 2
      - 0
    .max_flat_workgroup_size: 1024
    .name:           _ZL19k_bin_bcast_unravelIXadL_ZL6op_mulffEE6__halfS0_S0_JPKS0_S2_EEvPKT0_PKT1_PT2_15HIP_vector_typeIjLj3EESC_SC_jSC_SC_SC_SC_SC_SC_iiiiiiiiiiiDpT3_
    .private_segment_fixed_size: 0
    .sgpr_count:     32
    .sgpr_spill_count: 0
    .symbol:         _ZL19k_bin_bcast_unravelIXadL_ZL6op_mulffEE6__halfS0_S0_JPKS0_S2_EEvPKT0_PKT1_PT2_15HIP_vector_typeIjLj3EESC_SC_jSC_SC_SC_SC_SC_SC_iiiiiiiiiiiDpT3_.kd
    .uniform_work_group_size: 1
    .uses_dynamic_stack: false
    .vgpr_count:     11
    .vgpr_spill_count: 0
    .wavefront_size: 64
  - .args:
      - .address_space:  global
        .offset:         0
        .size:           8
        .value_kind:     global_buffer
      - .address_space:  global
        .offset:         8
        .size:           8
        .value_kind:     global_buffer
      - .address_space:  global
        .offset:         16
        .size:           8
        .value_kind:     global_buffer
      - .offset:         24
        .size:           4
        .value_kind:     by_value
      - .offset:         28
        .size:           4
        .value_kind:     by_value
      - .offset:         32
        .size:           4
        .value_kind:     by_value
      - .offset:         36
        .size:           12
        .value_kind:     by_value
      - .offset:         48
        .size:           12
        .value_kind:     by_value
      - .offset:         60
        .size:           12
        .value_kind:     by_value
      - .offset:         72
        .size:           12
        .value_kind:     by_value
      - .offset:         84
        .size:           12
        .value_kind:     by_value
      - .offset:         96
        .size:           4
        .value_kind:     by_value
      - .offset:         100
        .size:           4
        .value_kind:     by_value
      - .offset:         104
        .size:           4
        .value_kind:     by_value
      - .offset:         108
        .size:           4
        .value_kind:     by_value
      - .offset:         112
        .size:           4
        .value_kind:     by_value
      - .offset:         116
        .size:           4
        .value_kind:     by_value
      - .offset:         120
        .size:           4
        .value_kind:     by_value
      - .offset:         124
        .size:           4
        .value_kind:     by_value
      - .offset:         128
        .size:           4
        .value_kind:     by_value
      - .offset:         132
        .size:           4
        .value_kind:     by_value
      - .offset:         136
        .size:           4
        .value_kind:     by_value
      - .address_space:  global
        .offset:         144
        .size:           8
        .value_kind:     global_buffer
      - .address_space:  global
        .offset:         152
        .size:           8
        .value_kind:     global_buffer
      - .offset:         160
        .size:           4
        .value_kind:     hidden_block_count_x
      - .offset:         164
        .size:           4
        .value_kind:     hidden_block_count_y
      - .offset:         168
        .size:           4
        .value_kind:     hidden_block_count_z
      - .offset:         172
        .size:           2
        .value_kind:     hidden_group_size_x
      - .offset:         174
        .size:           2
        .value_kind:     hidden_group_size_y
      - .offset:         176
        .size:           2
        .value_kind:     hidden_group_size_z
      - .offset:         178
        .size:           2
        .value_kind:     hidden_remainder_x
      - .offset:         180
        .size:           2
        .value_kind:     hidden_remainder_y
      - .offset:         182
        .size:           2
        .value_kind:     hidden_remainder_z
      - .offset:         200
        .size:           8
        .value_kind:     hidden_global_offset_x
      - .offset:         208
        .size:           8
        .value_kind:     hidden_global_offset_y
      - .offset:         216
        .size:           8
        .value_kind:     hidden_global_offset_z
      - .offset:         224
        .size:           2
        .value_kind:     hidden_grid_dims
    .group_segment_fixed_size: 0
    .kernarg_segment_align: 8
    .kernarg_segment_size: 416
    .language:       OpenCL C
    .language_version:
      - 2
      - 0
    .max_flat_workgroup_size: 1024
    .name:           _ZL11k_bin_bcastIXadL_ZL6op_mulffEE6__halfS0_S0_JPKS0_S2_EEvPKT0_PKT1_PT2_iii15HIP_vector_typeIjLj3EESC_SC_SC_SC_iiiiiiiiiiiDpT3_
    .private_segment_fixed_size: 0
    .sgpr_count:     56
    .sgpr_spill_count: 0
    .symbol:         _ZL11k_bin_bcastIXadL_ZL6op_mulffEE6__halfS0_S0_JPKS0_S2_EEvPKT0_PKT1_PT2_iii15HIP_vector_typeIjLj3EESC_SC_SC_SC_iiiiiiiiiiiDpT3_.kd
    .uniform_work_group_size: 1
    .uses_dynamic_stack: false
    .vgpr_count:     15
    .vgpr_spill_count: 0
    .wavefront_size: 64
  - .args:
      - .address_space:  global
        .offset:         0
        .size:           8
        .value_kind:     global_buffer
      - .address_space:  global
        .offset:         8
        .size:           8
        .value_kind:     global_buffer
      - .address_space:  global
        .offset:         16
        .size:           8
        .value_kind:     global_buffer
      - .offset:         24
        .size:           12
        .value_kind:     by_value
      - .offset:         36
        .size:           12
        .value_kind:     by_value
      - .offset:         48
        .size:           12
        .value_kind:     by_value
      - .offset:         60
        .size:           4
        .value_kind:     by_value
      - .offset:         64
        .size:           12
        .value_kind:     by_value
      - .offset:         76
        .size:           12
        .value_kind:     by_value
      - .offset:         88
        .size:           12
        .value_kind:     by_value
      - .offset:         100
        .size:           12
        .value_kind:     by_value
      - .offset:         112
        .size:           12
        .value_kind:     by_value
      - .offset:         124
        .size:           12
        .value_kind:     by_value
      - .offset:         136
        .size:           4
        .value_kind:     by_value
      - .offset:         140
        .size:           4
        .value_kind:     by_value
      - .offset:         144
        .size:           4
        .value_kind:     by_value
      - .offset:         148
        .size:           4
        .value_kind:     by_value
      - .offset:         152
        .size:           4
        .value_kind:     by_value
      - .offset:         156
        .size:           4
        .value_kind:     by_value
      - .offset:         160
        .size:           4
        .value_kind:     by_value
      - .offset:         164
        .size:           4
        .value_kind:     by_value
      - .offset:         168
        .size:           4
        .value_kind:     by_value
      - .offset:         172
        .size:           4
        .value_kind:     by_value
      - .offset:         176
        .size:           4
        .value_kind:     by_value
      - .address_space:  global
        .offset:         184
        .size:           8
        .value_kind:     global_buffer
      - .address_space:  global
        .offset:         192
        .size:           8
        .value_kind:     global_buffer
      - .offset:         200
        .size:           4
        .value_kind:     hidden_block_count_x
      - .offset:         204
        .size:           4
        .value_kind:     hidden_block_count_y
      - .offset:         208
        .size:           4
        .value_kind:     hidden_block_count_z
      - .offset:         212
        .size:           2
        .value_kind:     hidden_group_size_x
      - .offset:         214
        .size:           2
        .value_kind:     hidden_group_size_y
      - .offset:         216
        .size:           2
        .value_kind:     hidden_group_size_z
      - .offset:         218
        .size:           2
        .value_kind:     hidden_remainder_x
      - .offset:         220
        .size:           2
        .value_kind:     hidden_remainder_y
      - .offset:         222
        .size:           2
        .value_kind:     hidden_remainder_z
      - .offset:         240
        .size:           8
        .value_kind:     hidden_global_offset_x
      - .offset:         248
        .size:           8
        .value_kind:     hidden_global_offset_y
      - .offset:         256
        .size:           8
        .value_kind:     hidden_global_offset_z
      - .offset:         264
        .size:           2
        .value_kind:     hidden_grid_dims
    .group_segment_fixed_size: 0
    .kernarg_segment_align: 8
    .kernarg_segment_size: 456
    .language:       OpenCL C
    .language_version:
      - 2
      - 0
    .max_flat_workgroup_size: 1024
    .name:           _ZL19k_bin_bcast_unravelIXadL_ZL6op_mulffEE6__halffS0_JPKfS2_EEvPKT0_PKT1_PT2_15HIP_vector_typeIjLj3EESC_SC_jSC_SC_SC_SC_SC_SC_iiiiiiiiiiiDpT3_
    .private_segment_fixed_size: 0
    .sgpr_count:     32
    .sgpr_spill_count: 0
    .symbol:         _ZL19k_bin_bcast_unravelIXadL_ZL6op_mulffEE6__halffS0_JPKfS2_EEvPKT0_PKT1_PT2_15HIP_vector_typeIjLj3EESC_SC_jSC_SC_SC_SC_SC_SC_iiiiiiiiiiiDpT3_.kd
    .uniform_work_group_size: 1
    .uses_dynamic_stack: false
    .vgpr_count:     11
    .vgpr_spill_count: 0
    .wavefront_size: 64
  - .args:
      - .address_space:  global
        .offset:         0
        .size:           8
        .value_kind:     global_buffer
      - .address_space:  global
        .offset:         8
        .size:           8
        .value_kind:     global_buffer
      - .address_space:  global
        .offset:         16
        .size:           8
        .value_kind:     global_buffer
      - .offset:         24
        .size:           4
        .value_kind:     by_value
      - .offset:         28
        .size:           4
        .value_kind:     by_value
      - .offset:         32
        .size:           4
        .value_kind:     by_value
      - .offset:         36
        .size:           12
        .value_kind:     by_value
      - .offset:         48
        .size:           12
        .value_kind:     by_value
      - .offset:         60
        .size:           12
        .value_kind:     by_value
      - .offset:         72
        .size:           12
        .value_kind:     by_value
      - .offset:         84
        .size:           12
        .value_kind:     by_value
      - .offset:         96
        .size:           4
        .value_kind:     by_value
      - .offset:         100
        .size:           4
        .value_kind:     by_value
      - .offset:         104
        .size:           4
        .value_kind:     by_value
      - .offset:         108
        .size:           4
        .value_kind:     by_value
      - .offset:         112
        .size:           4
        .value_kind:     by_value
      - .offset:         116
        .size:           4
        .value_kind:     by_value
      - .offset:         120
        .size:           4
        .value_kind:     by_value
      - .offset:         124
        .size:           4
        .value_kind:     by_value
      - .offset:         128
        .size:           4
        .value_kind:     by_value
      - .offset:         132
        .size:           4
        .value_kind:     by_value
      - .offset:         136
        .size:           4
        .value_kind:     by_value
      - .address_space:  global
        .offset:         144
        .size:           8
        .value_kind:     global_buffer
      - .address_space:  global
        .offset:         152
        .size:           8
        .value_kind:     global_buffer
      - .offset:         160
        .size:           4
        .value_kind:     hidden_block_count_x
      - .offset:         164
        .size:           4
        .value_kind:     hidden_block_count_y
      - .offset:         168
        .size:           4
        .value_kind:     hidden_block_count_z
      - .offset:         172
        .size:           2
        .value_kind:     hidden_group_size_x
      - .offset:         174
        .size:           2
        .value_kind:     hidden_group_size_y
      - .offset:         176
        .size:           2
        .value_kind:     hidden_group_size_z
      - .offset:         178
        .size:           2
        .value_kind:     hidden_remainder_x
      - .offset:         180
        .size:           2
        .value_kind:     hidden_remainder_y
      - .offset:         182
        .size:           2
        .value_kind:     hidden_remainder_z
      - .offset:         200
        .size:           8
        .value_kind:     hidden_global_offset_x
      - .offset:         208
        .size:           8
        .value_kind:     hidden_global_offset_y
      - .offset:         216
        .size:           8
        .value_kind:     hidden_global_offset_z
      - .offset:         224
        .size:           2
        .value_kind:     hidden_grid_dims
    .group_segment_fixed_size: 0
    .kernarg_segment_align: 8
    .kernarg_segment_size: 416
    .language:       OpenCL C
    .language_version:
      - 2
      - 0
    .max_flat_workgroup_size: 1024
    .name:           _ZL11k_bin_bcastIXadL_ZL6op_mulffEE6__halffS0_JPKfS2_EEvPKT0_PKT1_PT2_iii15HIP_vector_typeIjLj3EESC_SC_SC_SC_iiiiiiiiiiiDpT3_
    .private_segment_fixed_size: 0
    .sgpr_count:     56
    .sgpr_spill_count: 0
    .symbol:         _ZL11k_bin_bcastIXadL_ZL6op_mulffEE6__halffS0_JPKfS2_EEvPKT0_PKT1_PT2_iii15HIP_vector_typeIjLj3EESC_SC_SC_SC_iiiiiiiiiiiDpT3_.kd
    .uniform_work_group_size: 1
    .uses_dynamic_stack: false
    .vgpr_count:     15
    .vgpr_spill_count: 0
    .wavefront_size: 64
  - .args:
      - .address_space:  global
        .offset:         0
        .size:           8
        .value_kind:     global_buffer
      - .address_space:  global
        .offset:         8
        .size:           8
        .value_kind:     global_buffer
      - .address_space:  global
        .offset:         16
        .size:           8
        .value_kind:     global_buffer
      - .offset:         24
        .size:           12
        .value_kind:     by_value
      - .offset:         36
        .size:           12
        .value_kind:     by_value
      - .offset:         48
        .size:           12
        .value_kind:     by_value
      - .offset:         60
        .size:           4
        .value_kind:     by_value
      - .offset:         64
        .size:           12
        .value_kind:     by_value
      - .offset:         76
        .size:           12
        .value_kind:     by_value
      - .offset:         88
        .size:           12
        .value_kind:     by_value
      - .offset:         100
        .size:           12
        .value_kind:     by_value
      - .offset:         112
        .size:           12
        .value_kind:     by_value
      - .offset:         124
        .size:           12
        .value_kind:     by_value
      - .offset:         136
        .size:           4
        .value_kind:     by_value
      - .offset:         140
        .size:           4
        .value_kind:     by_value
      - .offset:         144
        .size:           4
        .value_kind:     by_value
      - .offset:         148
        .size:           4
        .value_kind:     by_value
      - .offset:         152
        .size:           4
        .value_kind:     by_value
      - .offset:         156
        .size:           4
        .value_kind:     by_value
      - .offset:         160
        .size:           4
        .value_kind:     by_value
      - .offset:         164
        .size:           4
        .value_kind:     by_value
      - .offset:         168
        .size:           4
        .value_kind:     by_value
      - .offset:         172
        .size:           4
        .value_kind:     by_value
      - .offset:         176
        .size:           4
        .value_kind:     by_value
      - .address_space:  global
        .offset:         184
        .size:           8
        .value_kind:     global_buffer
      - .address_space:  global
        .offset:         192
        .size:           8
        .value_kind:     global_buffer
      - .offset:         200
        .size:           4
        .value_kind:     hidden_block_count_x
      - .offset:         204
        .size:           4
        .value_kind:     hidden_block_count_y
      - .offset:         208
        .size:           4
        .value_kind:     hidden_block_count_z
      - .offset:         212
        .size:           2
        .value_kind:     hidden_group_size_x
      - .offset:         214
        .size:           2
        .value_kind:     hidden_group_size_y
      - .offset:         216
        .size:           2
        .value_kind:     hidden_group_size_z
      - .offset:         218
        .size:           2
        .value_kind:     hidden_remainder_x
      - .offset:         220
        .size:           2
        .value_kind:     hidden_remainder_y
      - .offset:         222
        .size:           2
        .value_kind:     hidden_remainder_z
      - .offset:         240
        .size:           8
        .value_kind:     hidden_global_offset_x
      - .offset:         248
        .size:           8
        .value_kind:     hidden_global_offset_y
      - .offset:         256
        .size:           8
        .value_kind:     hidden_global_offset_z
      - .offset:         264
        .size:           2
        .value_kind:     hidden_grid_dims
    .group_segment_fixed_size: 0
    .kernarg_segment_align: 8
    .kernarg_segment_size: 456
    .language:       OpenCL C
    .language_version:
      - 2
      - 0
    .max_flat_workgroup_size: 1024
    .name:           _ZL19k_bin_bcast_unravelIXadL_ZL6op_mulffEE6__halfffJPKfS2_EEvPKT0_PKT1_PT2_15HIP_vector_typeIjLj3EESC_SC_jSC_SC_SC_SC_SC_SC_iiiiiiiiiiiDpT3_
    .private_segment_fixed_size: 0
    .sgpr_count:     32
    .sgpr_spill_count: 0
    .symbol:         _ZL19k_bin_bcast_unravelIXadL_ZL6op_mulffEE6__halfffJPKfS2_EEvPKT0_PKT1_PT2_15HIP_vector_typeIjLj3EESC_SC_jSC_SC_SC_SC_SC_SC_iiiiiiiiiiiDpT3_.kd
    .uniform_work_group_size: 1
    .uses_dynamic_stack: false
    .vgpr_count:     11
    .vgpr_spill_count: 0
    .wavefront_size: 64
  - .args:
      - .address_space:  global
        .offset:         0
        .size:           8
        .value_kind:     global_buffer
      - .address_space:  global
        .offset:         8
        .size:           8
        .value_kind:     global_buffer
      - .address_space:  global
        .offset:         16
        .size:           8
        .value_kind:     global_buffer
      - .offset:         24
        .size:           4
        .value_kind:     by_value
      - .offset:         28
        .size:           4
        .value_kind:     by_value
      - .offset:         32
        .size:           4
        .value_kind:     by_value
      - .offset:         36
        .size:           12
        .value_kind:     by_value
      - .offset:         48
        .size:           12
        .value_kind:     by_value
      - .offset:         60
        .size:           12
        .value_kind:     by_value
      - .offset:         72
        .size:           12
        .value_kind:     by_value
      - .offset:         84
        .size:           12
        .value_kind:     by_value
      - .offset:         96
        .size:           4
        .value_kind:     by_value
      - .offset:         100
        .size:           4
        .value_kind:     by_value
      - .offset:         104
        .size:           4
        .value_kind:     by_value
      - .offset:         108
        .size:           4
        .value_kind:     by_value
      - .offset:         112
        .size:           4
        .value_kind:     by_value
      - .offset:         116
        .size:           4
        .value_kind:     by_value
      - .offset:         120
        .size:           4
        .value_kind:     by_value
      - .offset:         124
        .size:           4
        .value_kind:     by_value
      - .offset:         128
        .size:           4
        .value_kind:     by_value
      - .offset:         132
        .size:           4
        .value_kind:     by_value
      - .offset:         136
        .size:           4
        .value_kind:     by_value
      - .address_space:  global
        .offset:         144
        .size:           8
        .value_kind:     global_buffer
      - .address_space:  global
        .offset:         152
        .size:           8
        .value_kind:     global_buffer
      - .offset:         160
        .size:           4
        .value_kind:     hidden_block_count_x
      - .offset:         164
        .size:           4
        .value_kind:     hidden_block_count_y
      - .offset:         168
        .size:           4
        .value_kind:     hidden_block_count_z
      - .offset:         172
        .size:           2
        .value_kind:     hidden_group_size_x
      - .offset:         174
        .size:           2
        .value_kind:     hidden_group_size_y
      - .offset:         176
        .size:           2
        .value_kind:     hidden_group_size_z
      - .offset:         178
        .size:           2
        .value_kind:     hidden_remainder_x
      - .offset:         180
        .size:           2
        .value_kind:     hidden_remainder_y
      - .offset:         182
        .size:           2
        .value_kind:     hidden_remainder_z
      - .offset:         200
        .size:           8
        .value_kind:     hidden_global_offset_x
      - .offset:         208
        .size:           8
        .value_kind:     hidden_global_offset_y
      - .offset:         216
        .size:           8
        .value_kind:     hidden_global_offset_z
      - .offset:         224
        .size:           2
        .value_kind:     hidden_grid_dims
    .group_segment_fixed_size: 0
    .kernarg_segment_align: 8
    .kernarg_segment_size: 416
    .language:       OpenCL C
    .language_version:
      - 2
      - 0
    .max_flat_workgroup_size: 1024
    .name:           _ZL11k_bin_bcastIXadL_ZL6op_mulffEE6__halfffJPKfS2_EEvPKT0_PKT1_PT2_iii15HIP_vector_typeIjLj3EESC_SC_SC_SC_iiiiiiiiiiiDpT3_
    .private_segment_fixed_size: 0
    .sgpr_count:     56
    .sgpr_spill_count: 0
    .symbol:         _ZL11k_bin_bcastIXadL_ZL6op_mulffEE6__halfffJPKfS2_EEvPKT0_PKT1_PT2_iii15HIP_vector_typeIjLj3EESC_SC_SC_SC_iiiiiiiiiiiDpT3_.kd
    .uniform_work_group_size: 1
    .uses_dynamic_stack: false
    .vgpr_count:     15
    .vgpr_spill_count: 0
    .wavefront_size: 64
  - .args:
      - .address_space:  global
        .offset:         0
        .size:           8
        .value_kind:     global_buffer
      - .address_space:  global
        .offset:         8
        .size:           8
        .value_kind:     global_buffer
      - .address_space:  global
        .offset:         16
        .size:           8
        .value_kind:     global_buffer
      - .offset:         24
        .size:           12
        .value_kind:     by_value
      - .offset:         36
        .size:           12
        .value_kind:     by_value
      - .offset:         48
        .size:           12
        .value_kind:     by_value
      - .offset:         60
        .size:           4
        .value_kind:     by_value
      - .offset:         64
        .size:           12
        .value_kind:     by_value
      - .offset:         76
        .size:           12
        .value_kind:     by_value
      - .offset:         88
        .size:           12
        .value_kind:     by_value
      - .offset:         100
        .size:           12
        .value_kind:     by_value
      - .offset:         112
        .size:           12
        .value_kind:     by_value
      - .offset:         124
        .size:           12
        .value_kind:     by_value
      - .offset:         136
        .size:           4
        .value_kind:     by_value
      - .offset:         140
        .size:           4
        .value_kind:     by_value
      - .offset:         144
        .size:           4
        .value_kind:     by_value
      - .offset:         148
        .size:           4
        .value_kind:     by_value
      - .offset:         152
        .size:           4
        .value_kind:     by_value
      - .offset:         156
        .size:           4
        .value_kind:     by_value
      - .offset:         160
        .size:           4
        .value_kind:     by_value
      - .offset:         164
        .size:           4
        .value_kind:     by_value
      - .offset:         168
        .size:           4
        .value_kind:     by_value
      - .offset:         172
        .size:           4
        .value_kind:     by_value
      - .offset:         176
        .size:           4
        .value_kind:     by_value
      - .address_space:  global
        .offset:         184
        .size:           8
        .value_kind:     global_buffer
      - .address_space:  global
        .offset:         192
        .size:           8
        .value_kind:     global_buffer
      - .address_space:  global
        .offset:         200
        .size:           8
        .value_kind:     global_buffer
      - .offset:         208
        .size:           4
        .value_kind:     hidden_block_count_x
      - .offset:         212
        .size:           4
        .value_kind:     hidden_block_count_y
      - .offset:         216
        .size:           4
        .value_kind:     hidden_block_count_z
      - .offset:         220
        .size:           2
        .value_kind:     hidden_group_size_x
      - .offset:         222
        .size:           2
        .value_kind:     hidden_group_size_y
      - .offset:         224
        .size:           2
        .value_kind:     hidden_group_size_z
      - .offset:         226
        .size:           2
        .value_kind:     hidden_remainder_x
      - .offset:         228
        .size:           2
        .value_kind:     hidden_remainder_y
      - .offset:         230
        .size:           2
        .value_kind:     hidden_remainder_z
      - .offset:         248
        .size:           8
        .value_kind:     hidden_global_offset_x
      - .offset:         256
        .size:           8
        .value_kind:     hidden_global_offset_y
      - .offset:         264
        .size:           8
        .value_kind:     hidden_global_offset_z
      - .offset:         272
        .size:           2
        .value_kind:     hidden_grid_dims
    .group_segment_fixed_size: 0
    .kernarg_segment_align: 8
    .kernarg_segment_size: 464
    .language:       OpenCL C
    .language_version:
      - 2
      - 0
    .max_flat_workgroup_size: 1024
    .name:           _ZL19k_bin_bcast_unravelIXadL_ZL6op_mulffEEfffJPKfS1_S1_EEvPKT0_PKT1_PT2_15HIP_vector_typeIjLj3EESB_SB_jSB_SB_SB_SB_SB_SB_iiiiiiiiiiiDpT3_
    .private_segment_fixed_size: 0
    .sgpr_count:     32
    .sgpr_spill_count: 0
    .symbol:         _ZL19k_bin_bcast_unravelIXadL_ZL6op_mulffEEfffJPKfS1_S1_EEvPKT0_PKT1_PT2_15HIP_vector_typeIjLj3EESB_SB_jSB_SB_SB_SB_SB_SB_iiiiiiiiiiiDpT3_.kd
    .uniform_work_group_size: 1
    .uses_dynamic_stack: false
    .vgpr_count:     12
    .vgpr_spill_count: 0
    .wavefront_size: 64
  - .args:
      - .address_space:  global
        .offset:         0
        .size:           8
        .value_kind:     global_buffer
      - .address_space:  global
        .offset:         8
        .size:           8
        .value_kind:     global_buffer
      - .address_space:  global
        .offset:         16
        .size:           8
        .value_kind:     global_buffer
      - .offset:         24
        .size:           4
        .value_kind:     by_value
      - .offset:         28
        .size:           4
        .value_kind:     by_value
      - .offset:         32
        .size:           4
        .value_kind:     by_value
      - .offset:         36
        .size:           12
        .value_kind:     by_value
      - .offset:         48
        .size:           12
        .value_kind:     by_value
      - .offset:         60
        .size:           12
        .value_kind:     by_value
      - .offset:         72
        .size:           12
        .value_kind:     by_value
      - .offset:         84
        .size:           12
        .value_kind:     by_value
      - .offset:         96
        .size:           4
        .value_kind:     by_value
      - .offset:         100
        .size:           4
        .value_kind:     by_value
      - .offset:         104
        .size:           4
        .value_kind:     by_value
      - .offset:         108
        .size:           4
        .value_kind:     by_value
      - .offset:         112
        .size:           4
        .value_kind:     by_value
      - .offset:         116
        .size:           4
        .value_kind:     by_value
      - .offset:         120
        .size:           4
        .value_kind:     by_value
      - .offset:         124
        .size:           4
        .value_kind:     by_value
      - .offset:         128
        .size:           4
        .value_kind:     by_value
      - .offset:         132
        .size:           4
        .value_kind:     by_value
      - .offset:         136
        .size:           4
        .value_kind:     by_value
      - .address_space:  global
        .offset:         144
        .size:           8
        .value_kind:     global_buffer
      - .address_space:  global
        .offset:         152
        .size:           8
        .value_kind:     global_buffer
      - .address_space:  global
        .offset:         160
        .size:           8
        .value_kind:     global_buffer
      - .offset:         168
        .size:           4
        .value_kind:     hidden_block_count_x
      - .offset:         172
        .size:           4
        .value_kind:     hidden_block_count_y
      - .offset:         176
        .size:           4
        .value_kind:     hidden_block_count_z
      - .offset:         180
        .size:           2
        .value_kind:     hidden_group_size_x
      - .offset:         182
        .size:           2
        .value_kind:     hidden_group_size_y
      - .offset:         184
        .size:           2
        .value_kind:     hidden_group_size_z
      - .offset:         186
        .size:           2
        .value_kind:     hidden_remainder_x
      - .offset:         188
        .size:           2
        .value_kind:     hidden_remainder_y
      - .offset:         190
        .size:           2
        .value_kind:     hidden_remainder_z
      - .offset:         208
        .size:           8
        .value_kind:     hidden_global_offset_x
      - .offset:         216
        .size:           8
        .value_kind:     hidden_global_offset_y
      - .offset:         224
        .size:           8
        .value_kind:     hidden_global_offset_z
      - .offset:         232
        .size:           2
        .value_kind:     hidden_grid_dims
    .group_segment_fixed_size: 0
    .kernarg_segment_align: 8
    .kernarg_segment_size: 424
    .language:       OpenCL C
    .language_version:
      - 2
      - 0
    .max_flat_workgroup_size: 1024
    .name:           _ZL11k_bin_bcastIXadL_ZL6op_mulffEEfffJPKfS1_S1_EEvPKT0_PKT1_PT2_iii15HIP_vector_typeIjLj3EESB_SB_SB_SB_iiiiiiiiiiiDpT3_
    .private_segment_fixed_size: 0
    .sgpr_count:     56
    .sgpr_spill_count: 0
    .symbol:         _ZL11k_bin_bcastIXadL_ZL6op_mulffEEfffJPKfS1_S1_EEvPKT0_PKT1_PT2_iii15HIP_vector_typeIjLj3EESB_SB_SB_SB_iiiiiiiiiiiDpT3_.kd
    .uniform_work_group_size: 1
    .uses_dynamic_stack: false
    .vgpr_count:     17
    .vgpr_spill_count: 0
    .wavefront_size: 64
  - .args:
      - .address_space:  global
        .offset:         0
        .size:           8
        .value_kind:     global_buffer
      - .address_space:  global
        .offset:         8
        .size:           8
        .value_kind:     global_buffer
      - .address_space:  global
        .offset:         16
        .size:           8
        .value_kind:     global_buffer
      - .offset:         24
        .size:           12
        .value_kind:     by_value
      - .offset:         36
        .size:           12
        .value_kind:     by_value
      - .offset:         48
        .size:           12
        .value_kind:     by_value
      - .offset:         60
        .size:           4
        .value_kind:     by_value
      - .offset:         64
        .size:           12
        .value_kind:     by_value
      - .offset:         76
        .size:           12
        .value_kind:     by_value
      - .offset:         88
        .size:           12
        .value_kind:     by_value
      - .offset:         100
        .size:           12
        .value_kind:     by_value
      - .offset:         112
        .size:           12
        .value_kind:     by_value
      - .offset:         124
        .size:           12
        .value_kind:     by_value
      - .offset:         136
        .size:           4
        .value_kind:     by_value
      - .offset:         140
        .size:           4
        .value_kind:     by_value
      - .offset:         144
        .size:           4
        .value_kind:     by_value
      - .offset:         148
        .size:           4
        .value_kind:     by_value
      - .offset:         152
        .size:           4
        .value_kind:     by_value
      - .offset:         156
        .size:           4
        .value_kind:     by_value
      - .offset:         160
        .size:           4
        .value_kind:     by_value
      - .offset:         164
        .size:           4
        .value_kind:     by_value
      - .offset:         168
        .size:           4
        .value_kind:     by_value
      - .offset:         172
        .size:           4
        .value_kind:     by_value
      - .offset:         176
        .size:           4
        .value_kind:     by_value
      - .address_space:  global
        .offset:         184
        .size:           8
        .value_kind:     global_buffer
      - .address_space:  global
        .offset:         192
        .size:           8
        .value_kind:     global_buffer
      - .address_space:  global
        .offset:         200
        .size:           8
        .value_kind:     global_buffer
      - .offset:         208
        .size:           4
        .value_kind:     hidden_block_count_x
      - .offset:         212
        .size:           4
        .value_kind:     hidden_block_count_y
      - .offset:         216
        .size:           4
        .value_kind:     hidden_block_count_z
      - .offset:         220
        .size:           2
        .value_kind:     hidden_group_size_x
      - .offset:         222
        .size:           2
        .value_kind:     hidden_group_size_y
      - .offset:         224
        .size:           2
        .value_kind:     hidden_group_size_z
      - .offset:         226
        .size:           2
        .value_kind:     hidden_remainder_x
      - .offset:         228
        .size:           2
        .value_kind:     hidden_remainder_y
      - .offset:         230
        .size:           2
        .value_kind:     hidden_remainder_z
      - .offset:         248
        .size:           8
        .value_kind:     hidden_global_offset_x
      - .offset:         256
        .size:           8
        .value_kind:     hidden_global_offset_y
      - .offset:         264
        .size:           8
        .value_kind:     hidden_global_offset_z
      - .offset:         272
        .size:           2
        .value_kind:     hidden_grid_dims
    .group_segment_fixed_size: 0
    .kernarg_segment_align: 8
    .kernarg_segment_size: 464
    .language:       OpenCL C
    .language_version:
      - 2
      - 0
    .max_flat_workgroup_size: 1024
    .name:           _ZL19k_bin_bcast_unravelIXadL_ZL6op_mulffEE6__halfS0_S0_JPKS0_S2_S2_EEvPKT0_PKT1_PT2_15HIP_vector_typeIjLj3EESC_SC_jSC_SC_SC_SC_SC_SC_iiiiiiiiiiiDpT3_
    .private_segment_fixed_size: 0
    .sgpr_count:     32
    .sgpr_spill_count: 0
    .symbol:         _ZL19k_bin_bcast_unravelIXadL_ZL6op_mulffEE6__halfS0_S0_JPKS0_S2_S2_EEvPKT0_PKT1_PT2_15HIP_vector_typeIjLj3EESC_SC_jSC_SC_SC_SC_SC_SC_iiiiiiiiiiiDpT3_.kd
    .uniform_work_group_size: 1
    .uses_dynamic_stack: false
    .vgpr_count:     12
    .vgpr_spill_count: 0
    .wavefront_size: 64
  - .args:
      - .address_space:  global
        .offset:         0
        .size:           8
        .value_kind:     global_buffer
      - .address_space:  global
        .offset:         8
        .size:           8
        .value_kind:     global_buffer
      - .address_space:  global
        .offset:         16
        .size:           8
        .value_kind:     global_buffer
      - .offset:         24
        .size:           4
        .value_kind:     by_value
      - .offset:         28
        .size:           4
        .value_kind:     by_value
      - .offset:         32
        .size:           4
        .value_kind:     by_value
      - .offset:         36
        .size:           12
        .value_kind:     by_value
      - .offset:         48
        .size:           12
        .value_kind:     by_value
      - .offset:         60
        .size:           12
        .value_kind:     by_value
      - .offset:         72
        .size:           12
        .value_kind:     by_value
      - .offset:         84
        .size:           12
        .value_kind:     by_value
      - .offset:         96
        .size:           4
        .value_kind:     by_value
      - .offset:         100
        .size:           4
        .value_kind:     by_value
      - .offset:         104
        .size:           4
        .value_kind:     by_value
      - .offset:         108
        .size:           4
        .value_kind:     by_value
      - .offset:         112
        .size:           4
        .value_kind:     by_value
      - .offset:         116
        .size:           4
        .value_kind:     by_value
      - .offset:         120
        .size:           4
        .value_kind:     by_value
      - .offset:         124
        .size:           4
        .value_kind:     by_value
      - .offset:         128
        .size:           4
        .value_kind:     by_value
      - .offset:         132
        .size:           4
        .value_kind:     by_value
      - .offset:         136
        .size:           4
        .value_kind:     by_value
      - .address_space:  global
        .offset:         144
        .size:           8
        .value_kind:     global_buffer
      - .address_space:  global
        .offset:         152
        .size:           8
        .value_kind:     global_buffer
      - .address_space:  global
        .offset:         160
        .size:           8
        .value_kind:     global_buffer
      - .offset:         168
        .size:           4
        .value_kind:     hidden_block_count_x
      - .offset:         172
        .size:           4
        .value_kind:     hidden_block_count_y
      - .offset:         176
        .size:           4
        .value_kind:     hidden_block_count_z
      - .offset:         180
        .size:           2
        .value_kind:     hidden_group_size_x
      - .offset:         182
        .size:           2
        .value_kind:     hidden_group_size_y
      - .offset:         184
        .size:           2
        .value_kind:     hidden_group_size_z
      - .offset:         186
        .size:           2
        .value_kind:     hidden_remainder_x
      - .offset:         188
        .size:           2
        .value_kind:     hidden_remainder_y
      - .offset:         190
        .size:           2
        .value_kind:     hidden_remainder_z
      - .offset:         208
        .size:           8
        .value_kind:     hidden_global_offset_x
      - .offset:         216
        .size:           8
        .value_kind:     hidden_global_offset_y
      - .offset:         224
        .size:           8
        .value_kind:     hidden_global_offset_z
      - .offset:         232
        .size:           2
        .value_kind:     hidden_grid_dims
    .group_segment_fixed_size: 0
    .kernarg_segment_align: 8
    .kernarg_segment_size: 424
    .language:       OpenCL C
    .language_version:
      - 2
      - 0
    .max_flat_workgroup_size: 1024
    .name:           _ZL11k_bin_bcastIXadL_ZL6op_mulffEE6__halfS0_S0_JPKS0_S2_S2_EEvPKT0_PKT1_PT2_iii15HIP_vector_typeIjLj3EESC_SC_SC_SC_iiiiiiiiiiiDpT3_
    .private_segment_fixed_size: 0
    .sgpr_count:     56
    .sgpr_spill_count: 0
    .symbol:         _ZL11k_bin_bcastIXadL_ZL6op_mulffEE6__halfS0_S0_JPKS0_S2_S2_EEvPKT0_PKT1_PT2_iii15HIP_vector_typeIjLj3EESC_SC_SC_SC_iiiiiiiiiiiDpT3_.kd
    .uniform_work_group_size: 1
    .uses_dynamic_stack: false
    .vgpr_count:     17
    .vgpr_spill_count: 0
    .wavefront_size: 64
  - .args:
      - .address_space:  global
        .offset:         0
        .size:           8
        .value_kind:     global_buffer
      - .address_space:  global
        .offset:         8
        .size:           8
        .value_kind:     global_buffer
      - .address_space:  global
        .offset:         16
        .size:           8
        .value_kind:     global_buffer
      - .offset:         24
        .size:           12
        .value_kind:     by_value
      - .offset:         36
        .size:           12
        .value_kind:     by_value
      - .offset:         48
        .size:           12
        .value_kind:     by_value
      - .offset:         60
        .size:           4
        .value_kind:     by_value
      - .offset:         64
        .size:           12
        .value_kind:     by_value
      - .offset:         76
        .size:           12
        .value_kind:     by_value
      - .offset:         88
        .size:           12
        .value_kind:     by_value
      - .offset:         100
        .size:           12
        .value_kind:     by_value
      - .offset:         112
        .size:           12
        .value_kind:     by_value
      - .offset:         124
        .size:           12
        .value_kind:     by_value
      - .offset:         136
        .size:           4
        .value_kind:     by_value
      - .offset:         140
        .size:           4
        .value_kind:     by_value
      - .offset:         144
        .size:           4
        .value_kind:     by_value
      - .offset:         148
        .size:           4
        .value_kind:     by_value
      - .offset:         152
        .size:           4
        .value_kind:     by_value
      - .offset:         156
        .size:           4
        .value_kind:     by_value
      - .offset:         160
        .size:           4
        .value_kind:     by_value
      - .offset:         164
        .size:           4
        .value_kind:     by_value
      - .offset:         168
        .size:           4
        .value_kind:     by_value
      - .offset:         172
        .size:           4
        .value_kind:     by_value
      - .offset:         176
        .size:           4
        .value_kind:     by_value
      - .address_space:  global
        .offset:         184
        .size:           8
        .value_kind:     global_buffer
      - .address_space:  global
        .offset:         192
        .size:           8
        .value_kind:     global_buffer
      - .address_space:  global
        .offset:         200
        .size:           8
        .value_kind:     global_buffer
      - .offset:         208
        .size:           4
        .value_kind:     hidden_block_count_x
      - .offset:         212
        .size:           4
        .value_kind:     hidden_block_count_y
      - .offset:         216
        .size:           4
        .value_kind:     hidden_block_count_z
      - .offset:         220
        .size:           2
        .value_kind:     hidden_group_size_x
      - .offset:         222
        .size:           2
        .value_kind:     hidden_group_size_y
      - .offset:         224
        .size:           2
        .value_kind:     hidden_group_size_z
      - .offset:         226
        .size:           2
        .value_kind:     hidden_remainder_x
      - .offset:         228
        .size:           2
        .value_kind:     hidden_remainder_y
      - .offset:         230
        .size:           2
        .value_kind:     hidden_remainder_z
      - .offset:         248
        .size:           8
        .value_kind:     hidden_global_offset_x
      - .offset:         256
        .size:           8
        .value_kind:     hidden_global_offset_y
      - .offset:         264
        .size:           8
        .value_kind:     hidden_global_offset_z
      - .offset:         272
        .size:           2
        .value_kind:     hidden_grid_dims
    .group_segment_fixed_size: 0
    .kernarg_segment_align: 8
    .kernarg_segment_size: 464
    .language:       OpenCL C
    .language_version:
      - 2
      - 0
    .max_flat_workgroup_size: 1024
    .name:           _ZL19k_bin_bcast_unravelIXadL_ZL6op_mulffEE6__halffS0_JPKfS2_S2_EEvPKT0_PKT1_PT2_15HIP_vector_typeIjLj3EESC_SC_jSC_SC_SC_SC_SC_SC_iiiiiiiiiiiDpT3_
    .private_segment_fixed_size: 0
    .sgpr_count:     32
    .sgpr_spill_count: 0
    .symbol:         _ZL19k_bin_bcast_unravelIXadL_ZL6op_mulffEE6__halffS0_JPKfS2_S2_EEvPKT0_PKT1_PT2_15HIP_vector_typeIjLj3EESC_SC_jSC_SC_SC_SC_SC_SC_iiiiiiiiiiiDpT3_.kd
    .uniform_work_group_size: 1
    .uses_dynamic_stack: false
    .vgpr_count:     12
    .vgpr_spill_count: 0
    .wavefront_size: 64
  - .args:
      - .address_space:  global
        .offset:         0
        .size:           8
        .value_kind:     global_buffer
      - .address_space:  global
        .offset:         8
        .size:           8
        .value_kind:     global_buffer
      - .address_space:  global
        .offset:         16
        .size:           8
        .value_kind:     global_buffer
      - .offset:         24
        .size:           4
        .value_kind:     by_value
      - .offset:         28
        .size:           4
        .value_kind:     by_value
      - .offset:         32
        .size:           4
        .value_kind:     by_value
      - .offset:         36
        .size:           12
        .value_kind:     by_value
      - .offset:         48
        .size:           12
        .value_kind:     by_value
      - .offset:         60
        .size:           12
        .value_kind:     by_value
      - .offset:         72
        .size:           12
        .value_kind:     by_value
      - .offset:         84
        .size:           12
        .value_kind:     by_value
      - .offset:         96
        .size:           4
        .value_kind:     by_value
      - .offset:         100
        .size:           4
        .value_kind:     by_value
      - .offset:         104
        .size:           4
        .value_kind:     by_value
      - .offset:         108
        .size:           4
        .value_kind:     by_value
      - .offset:         112
        .size:           4
        .value_kind:     by_value
      - .offset:         116
        .size:           4
        .value_kind:     by_value
      - .offset:         120
        .size:           4
        .value_kind:     by_value
      - .offset:         124
        .size:           4
        .value_kind:     by_value
      - .offset:         128
        .size:           4
        .value_kind:     by_value
      - .offset:         132
        .size:           4
        .value_kind:     by_value
      - .offset:         136
        .size:           4
        .value_kind:     by_value
      - .address_space:  global
        .offset:         144
        .size:           8
        .value_kind:     global_buffer
      - .address_space:  global
        .offset:         152
        .size:           8
        .value_kind:     global_buffer
      - .address_space:  global
        .offset:         160
        .size:           8
        .value_kind:     global_buffer
      - .offset:         168
        .size:           4
        .value_kind:     hidden_block_count_x
      - .offset:         172
        .size:           4
        .value_kind:     hidden_block_count_y
      - .offset:         176
        .size:           4
        .value_kind:     hidden_block_count_z
      - .offset:         180
        .size:           2
        .value_kind:     hidden_group_size_x
      - .offset:         182
        .size:           2
        .value_kind:     hidden_group_size_y
      - .offset:         184
        .size:           2
        .value_kind:     hidden_group_size_z
      - .offset:         186
        .size:           2
        .value_kind:     hidden_remainder_x
      - .offset:         188
        .size:           2
        .value_kind:     hidden_remainder_y
      - .offset:         190
        .size:           2
        .value_kind:     hidden_remainder_z
      - .offset:         208
        .size:           8
        .value_kind:     hidden_global_offset_x
      - .offset:         216
        .size:           8
        .value_kind:     hidden_global_offset_y
      - .offset:         224
        .size:           8
        .value_kind:     hidden_global_offset_z
      - .offset:         232
        .size:           2
        .value_kind:     hidden_grid_dims
    .group_segment_fixed_size: 0
    .kernarg_segment_align: 8
    .kernarg_segment_size: 424
    .language:       OpenCL C
    .language_version:
      - 2
      - 0
    .max_flat_workgroup_size: 1024
    .name:           _ZL11k_bin_bcastIXadL_ZL6op_mulffEE6__halffS0_JPKfS2_S2_EEvPKT0_PKT1_PT2_iii15HIP_vector_typeIjLj3EESC_SC_SC_SC_iiiiiiiiiiiDpT3_
    .private_segment_fixed_size: 0
    .sgpr_count:     56
    .sgpr_spill_count: 0
    .symbol:         _ZL11k_bin_bcastIXadL_ZL6op_mulffEE6__halffS0_JPKfS2_S2_EEvPKT0_PKT1_PT2_iii15HIP_vector_typeIjLj3EESC_SC_SC_SC_iiiiiiiiiiiDpT3_.kd
    .uniform_work_group_size: 1
    .uses_dynamic_stack: false
    .vgpr_count:     17
    .vgpr_spill_count: 0
    .wavefront_size: 64
  - .args:
      - .address_space:  global
        .offset:         0
        .size:           8
        .value_kind:     global_buffer
      - .address_space:  global
        .offset:         8
        .size:           8
        .value_kind:     global_buffer
      - .address_space:  global
        .offset:         16
        .size:           8
        .value_kind:     global_buffer
      - .offset:         24
        .size:           12
        .value_kind:     by_value
      - .offset:         36
        .size:           12
        .value_kind:     by_value
      - .offset:         48
        .size:           12
        .value_kind:     by_value
      - .offset:         60
        .size:           4
        .value_kind:     by_value
      - .offset:         64
        .size:           12
        .value_kind:     by_value
      - .offset:         76
        .size:           12
        .value_kind:     by_value
      - .offset:         88
        .size:           12
        .value_kind:     by_value
      - .offset:         100
        .size:           12
        .value_kind:     by_value
      - .offset:         112
        .size:           12
        .value_kind:     by_value
      - .offset:         124
        .size:           12
        .value_kind:     by_value
      - .offset:         136
        .size:           4
        .value_kind:     by_value
      - .offset:         140
        .size:           4
        .value_kind:     by_value
      - .offset:         144
        .size:           4
        .value_kind:     by_value
      - .offset:         148
        .size:           4
        .value_kind:     by_value
      - .offset:         152
        .size:           4
        .value_kind:     by_value
      - .offset:         156
        .size:           4
        .value_kind:     by_value
      - .offset:         160
        .size:           4
        .value_kind:     by_value
      - .offset:         164
        .size:           4
        .value_kind:     by_value
      - .offset:         168
        .size:           4
        .value_kind:     by_value
      - .offset:         172
        .size:           4
        .value_kind:     by_value
      - .offset:         176
        .size:           4
        .value_kind:     by_value
      - .address_space:  global
        .offset:         184
        .size:           8
        .value_kind:     global_buffer
      - .address_space:  global
        .offset:         192
        .size:           8
        .value_kind:     global_buffer
      - .address_space:  global
        .offset:         200
        .size:           8
        .value_kind:     global_buffer
      - .offset:         208
        .size:           4
        .value_kind:     hidden_block_count_x
      - .offset:         212
        .size:           4
        .value_kind:     hidden_block_count_y
      - .offset:         216
        .size:           4
        .value_kind:     hidden_block_count_z
      - .offset:         220
        .size:           2
        .value_kind:     hidden_group_size_x
      - .offset:         222
        .size:           2
        .value_kind:     hidden_group_size_y
      - .offset:         224
        .size:           2
        .value_kind:     hidden_group_size_z
      - .offset:         226
        .size:           2
        .value_kind:     hidden_remainder_x
      - .offset:         228
        .size:           2
        .value_kind:     hidden_remainder_y
      - .offset:         230
        .size:           2
        .value_kind:     hidden_remainder_z
      - .offset:         248
        .size:           8
        .value_kind:     hidden_global_offset_x
      - .offset:         256
        .size:           8
        .value_kind:     hidden_global_offset_y
      - .offset:         264
        .size:           8
        .value_kind:     hidden_global_offset_z
      - .offset:         272
        .size:           2
        .value_kind:     hidden_grid_dims
    .group_segment_fixed_size: 0
    .kernarg_segment_align: 8
    .kernarg_segment_size: 464
    .language:       OpenCL C
    .language_version:
      - 2
      - 0
    .max_flat_workgroup_size: 1024
    .name:           _ZL19k_bin_bcast_unravelIXadL_ZL6op_mulffEE6__halfffJPKfS2_S2_EEvPKT0_PKT1_PT2_15HIP_vector_typeIjLj3EESC_SC_jSC_SC_SC_SC_SC_SC_iiiiiiiiiiiDpT3_
    .private_segment_fixed_size: 0
    .sgpr_count:     32
    .sgpr_spill_count: 0
    .symbol:         _ZL19k_bin_bcast_unravelIXadL_ZL6op_mulffEE6__halfffJPKfS2_S2_EEvPKT0_PKT1_PT2_15HIP_vector_typeIjLj3EESC_SC_jSC_SC_SC_SC_SC_SC_iiiiiiiiiiiDpT3_.kd
    .uniform_work_group_size: 1
    .uses_dynamic_stack: false
    .vgpr_count:     12
    .vgpr_spill_count: 0
    .wavefront_size: 64
  - .args:
      - .address_space:  global
        .offset:         0
        .size:           8
        .value_kind:     global_buffer
      - .address_space:  global
        .offset:         8
        .size:           8
        .value_kind:     global_buffer
      - .address_space:  global
        .offset:         16
        .size:           8
        .value_kind:     global_buffer
      - .offset:         24
        .size:           4
        .value_kind:     by_value
      - .offset:         28
        .size:           4
        .value_kind:     by_value
      - .offset:         32
        .size:           4
        .value_kind:     by_value
      - .offset:         36
        .size:           12
        .value_kind:     by_value
      - .offset:         48
        .size:           12
        .value_kind:     by_value
      - .offset:         60
        .size:           12
        .value_kind:     by_value
      - .offset:         72
        .size:           12
        .value_kind:     by_value
      - .offset:         84
        .size:           12
        .value_kind:     by_value
      - .offset:         96
        .size:           4
        .value_kind:     by_value
      - .offset:         100
        .size:           4
        .value_kind:     by_value
      - .offset:         104
        .size:           4
        .value_kind:     by_value
      - .offset:         108
        .size:           4
        .value_kind:     by_value
      - .offset:         112
        .size:           4
        .value_kind:     by_value
      - .offset:         116
        .size:           4
        .value_kind:     by_value
      - .offset:         120
        .size:           4
        .value_kind:     by_value
      - .offset:         124
        .size:           4
        .value_kind:     by_value
      - .offset:         128
        .size:           4
        .value_kind:     by_value
      - .offset:         132
        .size:           4
        .value_kind:     by_value
      - .offset:         136
        .size:           4
        .value_kind:     by_value
      - .address_space:  global
        .offset:         144
        .size:           8
        .value_kind:     global_buffer
      - .address_space:  global
        .offset:         152
        .size:           8
        .value_kind:     global_buffer
      - .address_space:  global
        .offset:         160
        .size:           8
        .value_kind:     global_buffer
      - .offset:         168
        .size:           4
        .value_kind:     hidden_block_count_x
      - .offset:         172
        .size:           4
        .value_kind:     hidden_block_count_y
      - .offset:         176
        .size:           4
        .value_kind:     hidden_block_count_z
      - .offset:         180
        .size:           2
        .value_kind:     hidden_group_size_x
      - .offset:         182
        .size:           2
        .value_kind:     hidden_group_size_y
      - .offset:         184
        .size:           2
        .value_kind:     hidden_group_size_z
      - .offset:         186
        .size:           2
        .value_kind:     hidden_remainder_x
      - .offset:         188
        .size:           2
        .value_kind:     hidden_remainder_y
      - .offset:         190
        .size:           2
        .value_kind:     hidden_remainder_z
      - .offset:         208
        .size:           8
        .value_kind:     hidden_global_offset_x
      - .offset:         216
        .size:           8
        .value_kind:     hidden_global_offset_y
      - .offset:         224
        .size:           8
        .value_kind:     hidden_global_offset_z
      - .offset:         232
        .size:           2
        .value_kind:     hidden_grid_dims
    .group_segment_fixed_size: 0
    .kernarg_segment_align: 8
    .kernarg_segment_size: 424
    .language:       OpenCL C
    .language_version:
      - 2
      - 0
    .max_flat_workgroup_size: 1024
    .name:           _ZL11k_bin_bcastIXadL_ZL6op_mulffEE6__halfffJPKfS2_S2_EEvPKT0_PKT1_PT2_iii15HIP_vector_typeIjLj3EESC_SC_SC_SC_iiiiiiiiiiiDpT3_
    .private_segment_fixed_size: 0
    .sgpr_count:     56
    .sgpr_spill_count: 0
    .symbol:         _ZL11k_bin_bcastIXadL_ZL6op_mulffEE6__halfffJPKfS2_S2_EEvPKT0_PKT1_PT2_iii15HIP_vector_typeIjLj3EESC_SC_SC_SC_iiiiiiiiiiiDpT3_.kd
    .uniform_work_group_size: 1
    .uses_dynamic_stack: false
    .vgpr_count:     17
    .vgpr_spill_count: 0
    .wavefront_size: 64
  - .args:
      - .address_space:  global
        .offset:         0
        .size:           8
        .value_kind:     global_buffer
      - .address_space:  global
        .offset:         8
        .size:           8
        .value_kind:     global_buffer
      - .address_space:  global
        .offset:         16
        .size:           8
        .value_kind:     global_buffer
      - .offset:         24
        .size:           12
        .value_kind:     by_value
      - .offset:         36
        .size:           12
        .value_kind:     by_value
      - .offset:         48
        .size:           12
        .value_kind:     by_value
      - .offset:         60
        .size:           4
        .value_kind:     by_value
      - .offset:         64
        .size:           12
        .value_kind:     by_value
      - .offset:         76
        .size:           12
        .value_kind:     by_value
      - .offset:         88
        .size:           12
        .value_kind:     by_value
      - .offset:         100
        .size:           12
        .value_kind:     by_value
      - .offset:         112
        .size:           12
        .value_kind:     by_value
      - .offset:         124
        .size:           12
        .value_kind:     by_value
      - .offset:         136
        .size:           4
        .value_kind:     by_value
      - .offset:         140
        .size:           4
        .value_kind:     by_value
      - .offset:         144
        .size:           4
        .value_kind:     by_value
      - .offset:         148
        .size:           4
        .value_kind:     by_value
      - .offset:         152
        .size:           4
        .value_kind:     by_value
      - .offset:         156
        .size:           4
        .value_kind:     by_value
      - .offset:         160
        .size:           4
        .value_kind:     by_value
      - .offset:         164
        .size:           4
        .value_kind:     by_value
      - .offset:         168
        .size:           4
        .value_kind:     by_value
      - .offset:         172
        .size:           4
        .value_kind:     by_value
      - .offset:         176
        .size:           4
        .value_kind:     by_value
      - .address_space:  global
        .offset:         184
        .size:           8
        .value_kind:     global_buffer
      - .address_space:  global
        .offset:         192
        .size:           8
        .value_kind:     global_buffer
      - .address_space:  global
        .offset:         200
        .size:           8
        .value_kind:     global_buffer
      - .address_space:  global
        .offset:         208
        .size:           8
        .value_kind:     global_buffer
      - .offset:         216
        .size:           4
        .value_kind:     hidden_block_count_x
      - .offset:         220
        .size:           4
        .value_kind:     hidden_block_count_y
      - .offset:         224
        .size:           4
        .value_kind:     hidden_block_count_z
      - .offset:         228
        .size:           2
        .value_kind:     hidden_group_size_x
      - .offset:         230
        .size:           2
        .value_kind:     hidden_group_size_y
      - .offset:         232
        .size:           2
        .value_kind:     hidden_group_size_z
      - .offset:         234
        .size:           2
        .value_kind:     hidden_remainder_x
      - .offset:         236
        .size:           2
        .value_kind:     hidden_remainder_y
      - .offset:         238
        .size:           2
        .value_kind:     hidden_remainder_z
      - .offset:         256
        .size:           8
        .value_kind:     hidden_global_offset_x
      - .offset:         264
        .size:           8
        .value_kind:     hidden_global_offset_y
      - .offset:         272
        .size:           8
        .value_kind:     hidden_global_offset_z
      - .offset:         280
        .size:           2
        .value_kind:     hidden_grid_dims
    .group_segment_fixed_size: 0
    .kernarg_segment_align: 8
    .kernarg_segment_size: 472
    .language:       OpenCL C
    .language_version:
      - 2
      - 0
    .max_flat_workgroup_size: 1024
    .name:           _ZL19k_bin_bcast_unravelIXadL_ZL6op_mulffEEfffJPKfS1_S1_S1_EEvPKT0_PKT1_PT2_15HIP_vector_typeIjLj3EESB_SB_jSB_SB_SB_SB_SB_SB_iiiiiiiiiiiDpT3_
    .private_segment_fixed_size: 0
    .sgpr_count:     32
    .sgpr_spill_count: 0
    .symbol:         _ZL19k_bin_bcast_unravelIXadL_ZL6op_mulffEEfffJPKfS1_S1_S1_EEvPKT0_PKT1_PT2_15HIP_vector_typeIjLj3EESB_SB_jSB_SB_SB_SB_SB_SB_iiiiiiiiiiiDpT3_.kd
    .uniform_work_group_size: 1
    .uses_dynamic_stack: false
    .vgpr_count:     13
    .vgpr_spill_count: 0
    .wavefront_size: 64
  - .args:
      - .address_space:  global
        .offset:         0
        .size:           8
        .value_kind:     global_buffer
      - .address_space:  global
        .offset:         8
        .size:           8
        .value_kind:     global_buffer
      - .address_space:  global
        .offset:         16
        .size:           8
        .value_kind:     global_buffer
      - .offset:         24
        .size:           4
        .value_kind:     by_value
      - .offset:         28
        .size:           4
        .value_kind:     by_value
      - .offset:         32
        .size:           4
        .value_kind:     by_value
      - .offset:         36
        .size:           12
        .value_kind:     by_value
      - .offset:         48
        .size:           12
        .value_kind:     by_value
      - .offset:         60
        .size:           12
        .value_kind:     by_value
      - .offset:         72
        .size:           12
        .value_kind:     by_value
      - .offset:         84
        .size:           12
        .value_kind:     by_value
      - .offset:         96
        .size:           4
        .value_kind:     by_value
      - .offset:         100
        .size:           4
        .value_kind:     by_value
      - .offset:         104
        .size:           4
        .value_kind:     by_value
      - .offset:         108
        .size:           4
        .value_kind:     by_value
      - .offset:         112
        .size:           4
        .value_kind:     by_value
      - .offset:         116
        .size:           4
        .value_kind:     by_value
      - .offset:         120
        .size:           4
        .value_kind:     by_value
      - .offset:         124
        .size:           4
        .value_kind:     by_value
      - .offset:         128
        .size:           4
        .value_kind:     by_value
      - .offset:         132
        .size:           4
        .value_kind:     by_value
      - .offset:         136
        .size:           4
        .value_kind:     by_value
      - .address_space:  global
        .offset:         144
        .size:           8
        .value_kind:     global_buffer
      - .address_space:  global
        .offset:         152
        .size:           8
        .value_kind:     global_buffer
      - .address_space:  global
        .offset:         160
        .size:           8
        .value_kind:     global_buffer
      - .address_space:  global
        .offset:         168
        .size:           8
        .value_kind:     global_buffer
      - .offset:         176
        .size:           4
        .value_kind:     hidden_block_count_x
      - .offset:         180
        .size:           4
        .value_kind:     hidden_block_count_y
      - .offset:         184
        .size:           4
        .value_kind:     hidden_block_count_z
      - .offset:         188
        .size:           2
        .value_kind:     hidden_group_size_x
      - .offset:         190
        .size:           2
        .value_kind:     hidden_group_size_y
      - .offset:         192
        .size:           2
        .value_kind:     hidden_group_size_z
      - .offset:         194
        .size:           2
        .value_kind:     hidden_remainder_x
      - .offset:         196
        .size:           2
        .value_kind:     hidden_remainder_y
      - .offset:         198
        .size:           2
        .value_kind:     hidden_remainder_z
      - .offset:         216
        .size:           8
        .value_kind:     hidden_global_offset_x
      - .offset:         224
        .size:           8
        .value_kind:     hidden_global_offset_y
      - .offset:         232
        .size:           8
        .value_kind:     hidden_global_offset_z
      - .offset:         240
        .size:           2
        .value_kind:     hidden_grid_dims
    .group_segment_fixed_size: 0
    .kernarg_segment_align: 8
    .kernarg_segment_size: 432
    .language:       OpenCL C
    .language_version:
      - 2
      - 0
    .max_flat_workgroup_size: 1024
    .name:           _ZL11k_bin_bcastIXadL_ZL6op_mulffEEfffJPKfS1_S1_S1_EEvPKT0_PKT1_PT2_iii15HIP_vector_typeIjLj3EESB_SB_SB_SB_iiiiiiiiiiiDpT3_
    .private_segment_fixed_size: 0
    .sgpr_count:     48
    .sgpr_spill_count: 0
    .symbol:         _ZL11k_bin_bcastIXadL_ZL6op_mulffEEfffJPKfS1_S1_S1_EEvPKT0_PKT1_PT2_iii15HIP_vector_typeIjLj3EESB_SB_SB_SB_iiiiiiiiiiiDpT3_.kd
    .uniform_work_group_size: 1
    .uses_dynamic_stack: false
    .vgpr_count:     19
    .vgpr_spill_count: 0
    .wavefront_size: 64
  - .args:
      - .address_space:  global
        .offset:         0
        .size:           8
        .value_kind:     global_buffer
      - .address_space:  global
        .offset:         8
        .size:           8
        .value_kind:     global_buffer
      - .address_space:  global
        .offset:         16
        .size:           8
        .value_kind:     global_buffer
      - .offset:         24
        .size:           12
        .value_kind:     by_value
      - .offset:         36
        .size:           12
        .value_kind:     by_value
      - .offset:         48
        .size:           12
        .value_kind:     by_value
      - .offset:         60
        .size:           4
        .value_kind:     by_value
      - .offset:         64
        .size:           12
        .value_kind:     by_value
      - .offset:         76
        .size:           12
        .value_kind:     by_value
      - .offset:         88
        .size:           12
        .value_kind:     by_value
      - .offset:         100
        .size:           12
        .value_kind:     by_value
      - .offset:         112
        .size:           12
        .value_kind:     by_value
      - .offset:         124
        .size:           12
        .value_kind:     by_value
      - .offset:         136
        .size:           4
        .value_kind:     by_value
      - .offset:         140
        .size:           4
        .value_kind:     by_value
      - .offset:         144
        .size:           4
        .value_kind:     by_value
      - .offset:         148
        .size:           4
        .value_kind:     by_value
      - .offset:         152
        .size:           4
        .value_kind:     by_value
      - .offset:         156
        .size:           4
        .value_kind:     by_value
      - .offset:         160
        .size:           4
        .value_kind:     by_value
      - .offset:         164
        .size:           4
        .value_kind:     by_value
      - .offset:         168
        .size:           4
        .value_kind:     by_value
      - .offset:         172
        .size:           4
        .value_kind:     by_value
      - .offset:         176
        .size:           4
        .value_kind:     by_value
      - .address_space:  global
        .offset:         184
        .size:           8
        .value_kind:     global_buffer
      - .address_space:  global
        .offset:         192
        .size:           8
        .value_kind:     global_buffer
      - .address_space:  global
        .offset:         200
        .size:           8
        .value_kind:     global_buffer
      - .address_space:  global
        .offset:         208
        .size:           8
        .value_kind:     global_buffer
      - .offset:         216
        .size:           4
        .value_kind:     hidden_block_count_x
      - .offset:         220
        .size:           4
        .value_kind:     hidden_block_count_y
      - .offset:         224
        .size:           4
        .value_kind:     hidden_block_count_z
      - .offset:         228
        .size:           2
        .value_kind:     hidden_group_size_x
      - .offset:         230
        .size:           2
        .value_kind:     hidden_group_size_y
      - .offset:         232
        .size:           2
        .value_kind:     hidden_group_size_z
      - .offset:         234
        .size:           2
        .value_kind:     hidden_remainder_x
      - .offset:         236
        .size:           2
        .value_kind:     hidden_remainder_y
      - .offset:         238
        .size:           2
        .value_kind:     hidden_remainder_z
      - .offset:         256
        .size:           8
        .value_kind:     hidden_global_offset_x
      - .offset:         264
        .size:           8
        .value_kind:     hidden_global_offset_y
      - .offset:         272
        .size:           8
        .value_kind:     hidden_global_offset_z
      - .offset:         280
        .size:           2
        .value_kind:     hidden_grid_dims
    .group_segment_fixed_size: 0
    .kernarg_segment_align: 8
    .kernarg_segment_size: 472
    .language:       OpenCL C
    .language_version:
      - 2
      - 0
    .max_flat_workgroup_size: 1024
    .name:           _ZL19k_bin_bcast_unravelIXadL_ZL6op_mulffEE6__halfS0_S0_JPKS0_S2_S2_S2_EEvPKT0_PKT1_PT2_15HIP_vector_typeIjLj3EESC_SC_jSC_SC_SC_SC_SC_SC_iiiiiiiiiiiDpT3_
    .private_segment_fixed_size: 0
    .sgpr_count:     32
    .sgpr_spill_count: 0
    .symbol:         _ZL19k_bin_bcast_unravelIXadL_ZL6op_mulffEE6__halfS0_S0_JPKS0_S2_S2_S2_EEvPKT0_PKT1_PT2_15HIP_vector_typeIjLj3EESC_SC_jSC_SC_SC_SC_SC_SC_iiiiiiiiiiiDpT3_.kd
    .uniform_work_group_size: 1
    .uses_dynamic_stack: false
    .vgpr_count:     13
    .vgpr_spill_count: 0
    .wavefront_size: 64
  - .args:
      - .address_space:  global
        .offset:         0
        .size:           8
        .value_kind:     global_buffer
      - .address_space:  global
        .offset:         8
        .size:           8
        .value_kind:     global_buffer
      - .address_space:  global
        .offset:         16
        .size:           8
        .value_kind:     global_buffer
      - .offset:         24
        .size:           4
        .value_kind:     by_value
      - .offset:         28
        .size:           4
        .value_kind:     by_value
      - .offset:         32
        .size:           4
        .value_kind:     by_value
      - .offset:         36
        .size:           12
        .value_kind:     by_value
      - .offset:         48
        .size:           12
        .value_kind:     by_value
      - .offset:         60
        .size:           12
        .value_kind:     by_value
      - .offset:         72
        .size:           12
        .value_kind:     by_value
      - .offset:         84
        .size:           12
        .value_kind:     by_value
      - .offset:         96
        .size:           4
        .value_kind:     by_value
      - .offset:         100
        .size:           4
        .value_kind:     by_value
      - .offset:         104
        .size:           4
        .value_kind:     by_value
      - .offset:         108
        .size:           4
        .value_kind:     by_value
      - .offset:         112
        .size:           4
        .value_kind:     by_value
      - .offset:         116
        .size:           4
        .value_kind:     by_value
      - .offset:         120
        .size:           4
        .value_kind:     by_value
      - .offset:         124
        .size:           4
        .value_kind:     by_value
      - .offset:         128
        .size:           4
        .value_kind:     by_value
      - .offset:         132
        .size:           4
        .value_kind:     by_value
      - .offset:         136
        .size:           4
        .value_kind:     by_value
      - .address_space:  global
        .offset:         144
        .size:           8
        .value_kind:     global_buffer
      - .address_space:  global
        .offset:         152
        .size:           8
        .value_kind:     global_buffer
      - .address_space:  global
        .offset:         160
        .size:           8
        .value_kind:     global_buffer
      - .address_space:  global
        .offset:         168
        .size:           8
        .value_kind:     global_buffer
      - .offset:         176
        .size:           4
        .value_kind:     hidden_block_count_x
      - .offset:         180
        .size:           4
        .value_kind:     hidden_block_count_y
      - .offset:         184
        .size:           4
        .value_kind:     hidden_block_count_z
      - .offset:         188
        .size:           2
        .value_kind:     hidden_group_size_x
      - .offset:         190
        .size:           2
        .value_kind:     hidden_group_size_y
      - .offset:         192
        .size:           2
        .value_kind:     hidden_group_size_z
      - .offset:         194
        .size:           2
        .value_kind:     hidden_remainder_x
      - .offset:         196
        .size:           2
        .value_kind:     hidden_remainder_y
      - .offset:         198
        .size:           2
        .value_kind:     hidden_remainder_z
      - .offset:         216
        .size:           8
        .value_kind:     hidden_global_offset_x
      - .offset:         224
        .size:           8
        .value_kind:     hidden_global_offset_y
      - .offset:         232
        .size:           8
        .value_kind:     hidden_global_offset_z
      - .offset:         240
        .size:           2
        .value_kind:     hidden_grid_dims
    .group_segment_fixed_size: 0
    .kernarg_segment_align: 8
    .kernarg_segment_size: 432
    .language:       OpenCL C
    .language_version:
      - 2
      - 0
    .max_flat_workgroup_size: 1024
    .name:           _ZL11k_bin_bcastIXadL_ZL6op_mulffEE6__halfS0_S0_JPKS0_S2_S2_S2_EEvPKT0_PKT1_PT2_iii15HIP_vector_typeIjLj3EESC_SC_SC_SC_iiiiiiiiiiiDpT3_
    .private_segment_fixed_size: 0
    .sgpr_count:     48
    .sgpr_spill_count: 0
    .symbol:         _ZL11k_bin_bcastIXadL_ZL6op_mulffEE6__halfS0_S0_JPKS0_S2_S2_S2_EEvPKT0_PKT1_PT2_iii15HIP_vector_typeIjLj3EESC_SC_SC_SC_iiiiiiiiiiiDpT3_.kd
    .uniform_work_group_size: 1
    .uses_dynamic_stack: false
    .vgpr_count:     19
    .vgpr_spill_count: 0
    .wavefront_size: 64
  - .args:
      - .address_space:  global
        .offset:         0
        .size:           8
        .value_kind:     global_buffer
      - .address_space:  global
        .offset:         8
        .size:           8
        .value_kind:     global_buffer
      - .address_space:  global
        .offset:         16
        .size:           8
        .value_kind:     global_buffer
      - .offset:         24
        .size:           12
        .value_kind:     by_value
      - .offset:         36
        .size:           12
        .value_kind:     by_value
      - .offset:         48
        .size:           12
        .value_kind:     by_value
      - .offset:         60
        .size:           4
        .value_kind:     by_value
      - .offset:         64
        .size:           12
        .value_kind:     by_value
      - .offset:         76
        .size:           12
        .value_kind:     by_value
      - .offset:         88
        .size:           12
        .value_kind:     by_value
      - .offset:         100
        .size:           12
        .value_kind:     by_value
      - .offset:         112
        .size:           12
        .value_kind:     by_value
      - .offset:         124
        .size:           12
        .value_kind:     by_value
      - .offset:         136
        .size:           4
        .value_kind:     by_value
      - .offset:         140
        .size:           4
        .value_kind:     by_value
      - .offset:         144
        .size:           4
        .value_kind:     by_value
      - .offset:         148
        .size:           4
        .value_kind:     by_value
      - .offset:         152
        .size:           4
        .value_kind:     by_value
      - .offset:         156
        .size:           4
        .value_kind:     by_value
      - .offset:         160
        .size:           4
        .value_kind:     by_value
      - .offset:         164
        .size:           4
        .value_kind:     by_value
      - .offset:         168
        .size:           4
        .value_kind:     by_value
      - .offset:         172
        .size:           4
        .value_kind:     by_value
      - .offset:         176
        .size:           4
        .value_kind:     by_value
      - .address_space:  global
        .offset:         184
        .size:           8
        .value_kind:     global_buffer
      - .address_space:  global
        .offset:         192
        .size:           8
        .value_kind:     global_buffer
      - .address_space:  global
        .offset:         200
        .size:           8
        .value_kind:     global_buffer
      - .address_space:  global
        .offset:         208
        .size:           8
        .value_kind:     global_buffer
      - .offset:         216
        .size:           4
        .value_kind:     hidden_block_count_x
      - .offset:         220
        .size:           4
        .value_kind:     hidden_block_count_y
      - .offset:         224
        .size:           4
        .value_kind:     hidden_block_count_z
      - .offset:         228
        .size:           2
        .value_kind:     hidden_group_size_x
      - .offset:         230
        .size:           2
        .value_kind:     hidden_group_size_y
      - .offset:         232
        .size:           2
        .value_kind:     hidden_group_size_z
      - .offset:         234
        .size:           2
        .value_kind:     hidden_remainder_x
      - .offset:         236
        .size:           2
        .value_kind:     hidden_remainder_y
      - .offset:         238
        .size:           2
        .value_kind:     hidden_remainder_z
      - .offset:         256
        .size:           8
        .value_kind:     hidden_global_offset_x
      - .offset:         264
        .size:           8
        .value_kind:     hidden_global_offset_y
      - .offset:         272
        .size:           8
        .value_kind:     hidden_global_offset_z
      - .offset:         280
        .size:           2
        .value_kind:     hidden_grid_dims
    .group_segment_fixed_size: 0
    .kernarg_segment_align: 8
    .kernarg_segment_size: 472
    .language:       OpenCL C
    .language_version:
      - 2
      - 0
    .max_flat_workgroup_size: 1024
    .name:           _ZL19k_bin_bcast_unravelIXadL_ZL6op_mulffEE6__halffS0_JPKfS2_S2_S2_EEvPKT0_PKT1_PT2_15HIP_vector_typeIjLj3EESC_SC_jSC_SC_SC_SC_SC_SC_iiiiiiiiiiiDpT3_
    .private_segment_fixed_size: 0
    .sgpr_count:     32
    .sgpr_spill_count: 0
    .symbol:         _ZL19k_bin_bcast_unravelIXadL_ZL6op_mulffEE6__halffS0_JPKfS2_S2_S2_EEvPKT0_PKT1_PT2_15HIP_vector_typeIjLj3EESC_SC_jSC_SC_SC_SC_SC_SC_iiiiiiiiiiiDpT3_.kd
    .uniform_work_group_size: 1
    .uses_dynamic_stack: false
    .vgpr_count:     13
    .vgpr_spill_count: 0
    .wavefront_size: 64
  - .args:
      - .address_space:  global
        .offset:         0
        .size:           8
        .value_kind:     global_buffer
      - .address_space:  global
        .offset:         8
        .size:           8
        .value_kind:     global_buffer
      - .address_space:  global
        .offset:         16
        .size:           8
        .value_kind:     global_buffer
      - .offset:         24
        .size:           4
        .value_kind:     by_value
      - .offset:         28
        .size:           4
        .value_kind:     by_value
      - .offset:         32
        .size:           4
        .value_kind:     by_value
      - .offset:         36
        .size:           12
        .value_kind:     by_value
      - .offset:         48
        .size:           12
        .value_kind:     by_value
      - .offset:         60
        .size:           12
        .value_kind:     by_value
      - .offset:         72
        .size:           12
        .value_kind:     by_value
      - .offset:         84
        .size:           12
        .value_kind:     by_value
      - .offset:         96
        .size:           4
        .value_kind:     by_value
      - .offset:         100
        .size:           4
        .value_kind:     by_value
      - .offset:         104
        .size:           4
        .value_kind:     by_value
      - .offset:         108
        .size:           4
        .value_kind:     by_value
      - .offset:         112
        .size:           4
        .value_kind:     by_value
      - .offset:         116
        .size:           4
        .value_kind:     by_value
      - .offset:         120
        .size:           4
        .value_kind:     by_value
      - .offset:         124
        .size:           4
        .value_kind:     by_value
      - .offset:         128
        .size:           4
        .value_kind:     by_value
      - .offset:         132
        .size:           4
        .value_kind:     by_value
      - .offset:         136
        .size:           4
        .value_kind:     by_value
      - .address_space:  global
        .offset:         144
        .size:           8
        .value_kind:     global_buffer
      - .address_space:  global
        .offset:         152
        .size:           8
        .value_kind:     global_buffer
      - .address_space:  global
        .offset:         160
        .size:           8
        .value_kind:     global_buffer
      - .address_space:  global
        .offset:         168
        .size:           8
        .value_kind:     global_buffer
      - .offset:         176
        .size:           4
        .value_kind:     hidden_block_count_x
      - .offset:         180
        .size:           4
        .value_kind:     hidden_block_count_y
      - .offset:         184
        .size:           4
        .value_kind:     hidden_block_count_z
      - .offset:         188
        .size:           2
        .value_kind:     hidden_group_size_x
      - .offset:         190
        .size:           2
        .value_kind:     hidden_group_size_y
      - .offset:         192
        .size:           2
        .value_kind:     hidden_group_size_z
      - .offset:         194
        .size:           2
        .value_kind:     hidden_remainder_x
      - .offset:         196
        .size:           2
        .value_kind:     hidden_remainder_y
      - .offset:         198
        .size:           2
        .value_kind:     hidden_remainder_z
      - .offset:         216
        .size:           8
        .value_kind:     hidden_global_offset_x
      - .offset:         224
        .size:           8
        .value_kind:     hidden_global_offset_y
      - .offset:         232
        .size:           8
        .value_kind:     hidden_global_offset_z
      - .offset:         240
        .size:           2
        .value_kind:     hidden_grid_dims
    .group_segment_fixed_size: 0
    .kernarg_segment_align: 8
    .kernarg_segment_size: 432
    .language:       OpenCL C
    .language_version:
      - 2
      - 0
    .max_flat_workgroup_size: 1024
    .name:           _ZL11k_bin_bcastIXadL_ZL6op_mulffEE6__halffS0_JPKfS2_S2_S2_EEvPKT0_PKT1_PT2_iii15HIP_vector_typeIjLj3EESC_SC_SC_SC_iiiiiiiiiiiDpT3_
    .private_segment_fixed_size: 0
    .sgpr_count:     48
    .sgpr_spill_count: 0
    .symbol:         _ZL11k_bin_bcastIXadL_ZL6op_mulffEE6__halffS0_JPKfS2_S2_S2_EEvPKT0_PKT1_PT2_iii15HIP_vector_typeIjLj3EESC_SC_SC_SC_iiiiiiiiiiiDpT3_.kd
    .uniform_work_group_size: 1
    .uses_dynamic_stack: false
    .vgpr_count:     19
    .vgpr_spill_count: 0
    .wavefront_size: 64
  - .args:
      - .address_space:  global
        .offset:         0
        .size:           8
        .value_kind:     global_buffer
      - .address_space:  global
        .offset:         8
        .size:           8
        .value_kind:     global_buffer
      - .address_space:  global
        .offset:         16
        .size:           8
        .value_kind:     global_buffer
      - .offset:         24
        .size:           12
        .value_kind:     by_value
      - .offset:         36
        .size:           12
        .value_kind:     by_value
      - .offset:         48
        .size:           12
        .value_kind:     by_value
      - .offset:         60
        .size:           4
        .value_kind:     by_value
      - .offset:         64
        .size:           12
        .value_kind:     by_value
      - .offset:         76
        .size:           12
        .value_kind:     by_value
      - .offset:         88
        .size:           12
        .value_kind:     by_value
      - .offset:         100
        .size:           12
        .value_kind:     by_value
      - .offset:         112
        .size:           12
        .value_kind:     by_value
      - .offset:         124
        .size:           12
        .value_kind:     by_value
      - .offset:         136
        .size:           4
        .value_kind:     by_value
      - .offset:         140
        .size:           4
        .value_kind:     by_value
      - .offset:         144
        .size:           4
        .value_kind:     by_value
      - .offset:         148
        .size:           4
        .value_kind:     by_value
      - .offset:         152
        .size:           4
        .value_kind:     by_value
      - .offset:         156
        .size:           4
        .value_kind:     by_value
      - .offset:         160
        .size:           4
        .value_kind:     by_value
      - .offset:         164
        .size:           4
        .value_kind:     by_value
      - .offset:         168
        .size:           4
        .value_kind:     by_value
      - .offset:         172
        .size:           4
        .value_kind:     by_value
      - .offset:         176
        .size:           4
        .value_kind:     by_value
      - .address_space:  global
        .offset:         184
        .size:           8
        .value_kind:     global_buffer
      - .address_space:  global
        .offset:         192
        .size:           8
        .value_kind:     global_buffer
      - .address_space:  global
        .offset:         200
        .size:           8
        .value_kind:     global_buffer
      - .address_space:  global
        .offset:         208
        .size:           8
        .value_kind:     global_buffer
      - .offset:         216
        .size:           4
        .value_kind:     hidden_block_count_x
      - .offset:         220
        .size:           4
        .value_kind:     hidden_block_count_y
      - .offset:         224
        .size:           4
        .value_kind:     hidden_block_count_z
      - .offset:         228
        .size:           2
        .value_kind:     hidden_group_size_x
      - .offset:         230
        .size:           2
        .value_kind:     hidden_group_size_y
      - .offset:         232
        .size:           2
        .value_kind:     hidden_group_size_z
      - .offset:         234
        .size:           2
        .value_kind:     hidden_remainder_x
      - .offset:         236
        .size:           2
        .value_kind:     hidden_remainder_y
      - .offset:         238
        .size:           2
        .value_kind:     hidden_remainder_z
      - .offset:         256
        .size:           8
        .value_kind:     hidden_global_offset_x
      - .offset:         264
        .size:           8
        .value_kind:     hidden_global_offset_y
      - .offset:         272
        .size:           8
        .value_kind:     hidden_global_offset_z
      - .offset:         280
        .size:           2
        .value_kind:     hidden_grid_dims
    .group_segment_fixed_size: 0
    .kernarg_segment_align: 8
    .kernarg_segment_size: 472
    .language:       OpenCL C
    .language_version:
      - 2
      - 0
    .max_flat_workgroup_size: 1024
    .name:           _ZL19k_bin_bcast_unravelIXadL_ZL6op_mulffEE6__halfffJPKfS2_S2_S2_EEvPKT0_PKT1_PT2_15HIP_vector_typeIjLj3EESC_SC_jSC_SC_SC_SC_SC_SC_iiiiiiiiiiiDpT3_
    .private_segment_fixed_size: 0
    .sgpr_count:     32
    .sgpr_spill_count: 0
    .symbol:         _ZL19k_bin_bcast_unravelIXadL_ZL6op_mulffEE6__halfffJPKfS2_S2_S2_EEvPKT0_PKT1_PT2_15HIP_vector_typeIjLj3EESC_SC_jSC_SC_SC_SC_SC_SC_iiiiiiiiiiiDpT3_.kd
    .uniform_work_group_size: 1
    .uses_dynamic_stack: false
    .vgpr_count:     13
    .vgpr_spill_count: 0
    .wavefront_size: 64
  - .args:
      - .address_space:  global
        .offset:         0
        .size:           8
        .value_kind:     global_buffer
      - .address_space:  global
        .offset:         8
        .size:           8
        .value_kind:     global_buffer
      - .address_space:  global
        .offset:         16
        .size:           8
        .value_kind:     global_buffer
      - .offset:         24
        .size:           4
        .value_kind:     by_value
      - .offset:         28
        .size:           4
        .value_kind:     by_value
      - .offset:         32
        .size:           4
        .value_kind:     by_value
      - .offset:         36
        .size:           12
        .value_kind:     by_value
      - .offset:         48
        .size:           12
        .value_kind:     by_value
      - .offset:         60
        .size:           12
        .value_kind:     by_value
      - .offset:         72
        .size:           12
        .value_kind:     by_value
      - .offset:         84
        .size:           12
        .value_kind:     by_value
      - .offset:         96
        .size:           4
        .value_kind:     by_value
      - .offset:         100
        .size:           4
        .value_kind:     by_value
      - .offset:         104
        .size:           4
        .value_kind:     by_value
      - .offset:         108
        .size:           4
        .value_kind:     by_value
      - .offset:         112
        .size:           4
        .value_kind:     by_value
      - .offset:         116
        .size:           4
        .value_kind:     by_value
      - .offset:         120
        .size:           4
        .value_kind:     by_value
      - .offset:         124
        .size:           4
        .value_kind:     by_value
      - .offset:         128
        .size:           4
        .value_kind:     by_value
      - .offset:         132
        .size:           4
        .value_kind:     by_value
      - .offset:         136
        .size:           4
        .value_kind:     by_value
      - .address_space:  global
        .offset:         144
        .size:           8
        .value_kind:     global_buffer
      - .address_space:  global
        .offset:         152
        .size:           8
        .value_kind:     global_buffer
      - .address_space:  global
        .offset:         160
        .size:           8
        .value_kind:     global_buffer
      - .address_space:  global
        .offset:         168
        .size:           8
        .value_kind:     global_buffer
      - .offset:         176
        .size:           4
        .value_kind:     hidden_block_count_x
      - .offset:         180
        .size:           4
        .value_kind:     hidden_block_count_y
      - .offset:         184
        .size:           4
        .value_kind:     hidden_block_count_z
      - .offset:         188
        .size:           2
        .value_kind:     hidden_group_size_x
      - .offset:         190
        .size:           2
        .value_kind:     hidden_group_size_y
      - .offset:         192
        .size:           2
        .value_kind:     hidden_group_size_z
      - .offset:         194
        .size:           2
        .value_kind:     hidden_remainder_x
      - .offset:         196
        .size:           2
        .value_kind:     hidden_remainder_y
      - .offset:         198
        .size:           2
        .value_kind:     hidden_remainder_z
      - .offset:         216
        .size:           8
        .value_kind:     hidden_global_offset_x
      - .offset:         224
        .size:           8
        .value_kind:     hidden_global_offset_y
      - .offset:         232
        .size:           8
        .value_kind:     hidden_global_offset_z
      - .offset:         240
        .size:           2
        .value_kind:     hidden_grid_dims
    .group_segment_fixed_size: 0
    .kernarg_segment_align: 8
    .kernarg_segment_size: 432
    .language:       OpenCL C
    .language_version:
      - 2
      - 0
    .max_flat_workgroup_size: 1024
    .name:           _ZL11k_bin_bcastIXadL_ZL6op_mulffEE6__halfffJPKfS2_S2_S2_EEvPKT0_PKT1_PT2_iii15HIP_vector_typeIjLj3EESC_SC_SC_SC_iiiiiiiiiiiDpT3_
    .private_segment_fixed_size: 0
    .sgpr_count:     48
    .sgpr_spill_count: 0
    .symbol:         _ZL11k_bin_bcastIXadL_ZL6op_mulffEE6__halfffJPKfS2_S2_S2_EEvPKT0_PKT1_PT2_iii15HIP_vector_typeIjLj3EESC_SC_SC_SC_iiiiiiiiiiiDpT3_.kd
    .uniform_work_group_size: 1
    .uses_dynamic_stack: false
    .vgpr_count:     19
    .vgpr_spill_count: 0
    .wavefront_size: 64
  - .args:
      - .address_space:  global
        .offset:         0
        .size:           8
        .value_kind:     global_buffer
      - .address_space:  global
        .offset:         8
        .size:           8
        .value_kind:     global_buffer
      - .address_space:  global
        .offset:         16
        .size:           8
        .value_kind:     global_buffer
      - .offset:         24
        .size:           12
        .value_kind:     by_value
      - .offset:         36
        .size:           12
        .value_kind:     by_value
      - .offset:         48
        .size:           12
        .value_kind:     by_value
      - .offset:         60
        .size:           4
        .value_kind:     by_value
      - .offset:         64
        .size:           12
        .value_kind:     by_value
      - .offset:         76
        .size:           12
        .value_kind:     by_value
      - .offset:         88
        .size:           12
        .value_kind:     by_value
      - .offset:         100
        .size:           12
        .value_kind:     by_value
      - .offset:         112
        .size:           12
        .value_kind:     by_value
      - .offset:         124
        .size:           12
        .value_kind:     by_value
      - .offset:         136
        .size:           4
        .value_kind:     by_value
      - .offset:         140
        .size:           4
        .value_kind:     by_value
      - .offset:         144
        .size:           4
        .value_kind:     by_value
      - .offset:         148
        .size:           4
        .value_kind:     by_value
      - .offset:         152
        .size:           4
        .value_kind:     by_value
      - .offset:         156
        .size:           4
        .value_kind:     by_value
      - .offset:         160
        .size:           4
        .value_kind:     by_value
      - .offset:         164
        .size:           4
        .value_kind:     by_value
      - .offset:         168
        .size:           4
        .value_kind:     by_value
      - .offset:         172
        .size:           4
        .value_kind:     by_value
      - .offset:         176
        .size:           4
        .value_kind:     by_value
      - .address_space:  global
        .offset:         184
        .size:           8
        .value_kind:     global_buffer
      - .address_space:  global
        .offset:         192
        .size:           8
        .value_kind:     global_buffer
      - .address_space:  global
        .offset:         200
        .size:           8
        .value_kind:     global_buffer
      - .address_space:  global
        .offset:         208
        .size:           8
        .value_kind:     global_buffer
      - .address_space:  global
        .offset:         216
        .size:           8
        .value_kind:     global_buffer
      - .offset:         224
        .size:           4
        .value_kind:     hidden_block_count_x
      - .offset:         228
        .size:           4
        .value_kind:     hidden_block_count_y
      - .offset:         232
        .size:           4
        .value_kind:     hidden_block_count_z
      - .offset:         236
        .size:           2
        .value_kind:     hidden_group_size_x
      - .offset:         238
        .size:           2
        .value_kind:     hidden_group_size_y
      - .offset:         240
        .size:           2
        .value_kind:     hidden_group_size_z
      - .offset:         242
        .size:           2
        .value_kind:     hidden_remainder_x
      - .offset:         244
        .size:           2
        .value_kind:     hidden_remainder_y
      - .offset:         246
        .size:           2
        .value_kind:     hidden_remainder_z
      - .offset:         264
        .size:           8
        .value_kind:     hidden_global_offset_x
      - .offset:         272
        .size:           8
        .value_kind:     hidden_global_offset_y
      - .offset:         280
        .size:           8
        .value_kind:     hidden_global_offset_z
      - .offset:         288
        .size:           2
        .value_kind:     hidden_grid_dims
    .group_segment_fixed_size: 0
    .kernarg_segment_align: 8
    .kernarg_segment_size: 480
    .language:       OpenCL C
    .language_version:
      - 2
      - 0
    .max_flat_workgroup_size: 1024
    .name:           _ZL19k_bin_bcast_unravelIXadL_ZL6op_mulffEEfffJPKfS1_S1_S1_S1_EEvPKT0_PKT1_PT2_15HIP_vector_typeIjLj3EESB_SB_jSB_SB_SB_SB_SB_SB_iiiiiiiiiiiDpT3_
    .private_segment_fixed_size: 0
    .sgpr_count:     32
    .sgpr_spill_count: 0
    .symbol:         _ZL19k_bin_bcast_unravelIXadL_ZL6op_mulffEEfffJPKfS1_S1_S1_S1_EEvPKT0_PKT1_PT2_15HIP_vector_typeIjLj3EESB_SB_jSB_SB_SB_SB_SB_SB_iiiiiiiiiiiDpT3_.kd
    .uniform_work_group_size: 1
    .uses_dynamic_stack: false
    .vgpr_count:     14
    .vgpr_spill_count: 0
    .wavefront_size: 64
  - .args:
      - .address_space:  global
        .offset:         0
        .size:           8
        .value_kind:     global_buffer
      - .address_space:  global
        .offset:         8
        .size:           8
        .value_kind:     global_buffer
      - .address_space:  global
        .offset:         16
        .size:           8
        .value_kind:     global_buffer
      - .offset:         24
        .size:           4
        .value_kind:     by_value
      - .offset:         28
        .size:           4
        .value_kind:     by_value
      - .offset:         32
        .size:           4
        .value_kind:     by_value
      - .offset:         36
        .size:           12
        .value_kind:     by_value
      - .offset:         48
        .size:           12
        .value_kind:     by_value
      - .offset:         60
        .size:           12
        .value_kind:     by_value
      - .offset:         72
        .size:           12
        .value_kind:     by_value
      - .offset:         84
        .size:           12
        .value_kind:     by_value
      - .offset:         96
        .size:           4
        .value_kind:     by_value
      - .offset:         100
        .size:           4
        .value_kind:     by_value
      - .offset:         104
        .size:           4
        .value_kind:     by_value
      - .offset:         108
        .size:           4
        .value_kind:     by_value
      - .offset:         112
        .size:           4
        .value_kind:     by_value
      - .offset:         116
        .size:           4
        .value_kind:     by_value
      - .offset:         120
        .size:           4
        .value_kind:     by_value
      - .offset:         124
        .size:           4
        .value_kind:     by_value
      - .offset:         128
        .size:           4
        .value_kind:     by_value
      - .offset:         132
        .size:           4
        .value_kind:     by_value
      - .offset:         136
        .size:           4
        .value_kind:     by_value
      - .address_space:  global
        .offset:         144
        .size:           8
        .value_kind:     global_buffer
      - .address_space:  global
        .offset:         152
        .size:           8
        .value_kind:     global_buffer
      - .address_space:  global
        .offset:         160
        .size:           8
        .value_kind:     global_buffer
      - .address_space:  global
        .offset:         168
        .size:           8
        .value_kind:     global_buffer
      - .address_space:  global
        .offset:         176
        .size:           8
        .value_kind:     global_buffer
      - .offset:         184
        .size:           4
        .value_kind:     hidden_block_count_x
      - .offset:         188
        .size:           4
        .value_kind:     hidden_block_count_y
      - .offset:         192
        .size:           4
        .value_kind:     hidden_block_count_z
      - .offset:         196
        .size:           2
        .value_kind:     hidden_group_size_x
      - .offset:         198
        .size:           2
        .value_kind:     hidden_group_size_y
      - .offset:         200
        .size:           2
        .value_kind:     hidden_group_size_z
      - .offset:         202
        .size:           2
        .value_kind:     hidden_remainder_x
      - .offset:         204
        .size:           2
        .value_kind:     hidden_remainder_y
      - .offset:         206
        .size:           2
        .value_kind:     hidden_remainder_z
      - .offset:         224
        .size:           8
        .value_kind:     hidden_global_offset_x
      - .offset:         232
        .size:           8
        .value_kind:     hidden_global_offset_y
      - .offset:         240
        .size:           8
        .value_kind:     hidden_global_offset_z
      - .offset:         248
        .size:           2
        .value_kind:     hidden_grid_dims
    .group_segment_fixed_size: 0
    .kernarg_segment_align: 8
    .kernarg_segment_size: 440
    .language:       OpenCL C
    .language_version:
      - 2
      - 0
    .max_flat_workgroup_size: 1024
    .name:           _ZL11k_bin_bcastIXadL_ZL6op_mulffEEfffJPKfS1_S1_S1_S1_EEvPKT0_PKT1_PT2_iii15HIP_vector_typeIjLj3EESB_SB_SB_SB_iiiiiiiiiiiDpT3_
    .private_segment_fixed_size: 0
    .sgpr_count:     48
    .sgpr_spill_count: 0
    .symbol:         _ZL11k_bin_bcastIXadL_ZL6op_mulffEEfffJPKfS1_S1_S1_S1_EEvPKT0_PKT1_PT2_iii15HIP_vector_typeIjLj3EESB_SB_SB_SB_iiiiiiiiiiiDpT3_.kd
    .uniform_work_group_size: 1
    .uses_dynamic_stack: false
    .vgpr_count:     29
    .vgpr_spill_count: 0
    .wavefront_size: 64
  - .args:
      - .address_space:  global
        .offset:         0
        .size:           8
        .value_kind:     global_buffer
      - .address_space:  global
        .offset:         8
        .size:           8
        .value_kind:     global_buffer
      - .address_space:  global
        .offset:         16
        .size:           8
        .value_kind:     global_buffer
      - .offset:         24
        .size:           12
        .value_kind:     by_value
      - .offset:         36
        .size:           12
        .value_kind:     by_value
      - .offset:         48
        .size:           12
        .value_kind:     by_value
      - .offset:         60
        .size:           4
        .value_kind:     by_value
      - .offset:         64
        .size:           12
        .value_kind:     by_value
      - .offset:         76
        .size:           12
        .value_kind:     by_value
      - .offset:         88
        .size:           12
        .value_kind:     by_value
      - .offset:         100
        .size:           12
        .value_kind:     by_value
      - .offset:         112
        .size:           12
        .value_kind:     by_value
      - .offset:         124
        .size:           12
        .value_kind:     by_value
      - .offset:         136
        .size:           4
        .value_kind:     by_value
      - .offset:         140
        .size:           4
        .value_kind:     by_value
      - .offset:         144
        .size:           4
        .value_kind:     by_value
      - .offset:         148
        .size:           4
        .value_kind:     by_value
      - .offset:         152
        .size:           4
        .value_kind:     by_value
      - .offset:         156
        .size:           4
        .value_kind:     by_value
      - .offset:         160
        .size:           4
        .value_kind:     by_value
      - .offset:         164
        .size:           4
        .value_kind:     by_value
      - .offset:         168
        .size:           4
        .value_kind:     by_value
      - .offset:         172
        .size:           4
        .value_kind:     by_value
      - .offset:         176
        .size:           4
        .value_kind:     by_value
      - .address_space:  global
        .offset:         184
        .size:           8
        .value_kind:     global_buffer
      - .address_space:  global
        .offset:         192
        .size:           8
        .value_kind:     global_buffer
      - .address_space:  global
        .offset:         200
        .size:           8
        .value_kind:     global_buffer
      - .address_space:  global
        .offset:         208
        .size:           8
        .value_kind:     global_buffer
      - .address_space:  global
        .offset:         216
        .size:           8
        .value_kind:     global_buffer
      - .offset:         224
        .size:           4
        .value_kind:     hidden_block_count_x
      - .offset:         228
        .size:           4
        .value_kind:     hidden_block_count_y
      - .offset:         232
        .size:           4
        .value_kind:     hidden_block_count_z
      - .offset:         236
        .size:           2
        .value_kind:     hidden_group_size_x
      - .offset:         238
        .size:           2
        .value_kind:     hidden_group_size_y
      - .offset:         240
        .size:           2
        .value_kind:     hidden_group_size_z
      - .offset:         242
        .size:           2
        .value_kind:     hidden_remainder_x
      - .offset:         244
        .size:           2
        .value_kind:     hidden_remainder_y
      - .offset:         246
        .size:           2
        .value_kind:     hidden_remainder_z
      - .offset:         264
        .size:           8
        .value_kind:     hidden_global_offset_x
      - .offset:         272
        .size:           8
        .value_kind:     hidden_global_offset_y
      - .offset:         280
        .size:           8
        .value_kind:     hidden_global_offset_z
      - .offset:         288
        .size:           2
        .value_kind:     hidden_grid_dims
    .group_segment_fixed_size: 0
    .kernarg_segment_align: 8
    .kernarg_segment_size: 480
    .language:       OpenCL C
    .language_version:
      - 2
      - 0
    .max_flat_workgroup_size: 1024
    .name:           _ZL19k_bin_bcast_unravelIXadL_ZL6op_mulffEE6__halfS0_S0_JPKS0_S2_S2_S2_S2_EEvPKT0_PKT1_PT2_15HIP_vector_typeIjLj3EESC_SC_jSC_SC_SC_SC_SC_SC_iiiiiiiiiiiDpT3_
    .private_segment_fixed_size: 0
    .sgpr_count:     32
    .sgpr_spill_count: 0
    .symbol:         _ZL19k_bin_bcast_unravelIXadL_ZL6op_mulffEE6__halfS0_S0_JPKS0_S2_S2_S2_S2_EEvPKT0_PKT1_PT2_15HIP_vector_typeIjLj3EESC_SC_jSC_SC_SC_SC_SC_SC_iiiiiiiiiiiDpT3_.kd
    .uniform_work_group_size: 1
    .uses_dynamic_stack: false
    .vgpr_count:     14
    .vgpr_spill_count: 0
    .wavefront_size: 64
  - .args:
      - .address_space:  global
        .offset:         0
        .size:           8
        .value_kind:     global_buffer
      - .address_space:  global
        .offset:         8
        .size:           8
        .value_kind:     global_buffer
      - .address_space:  global
        .offset:         16
        .size:           8
        .value_kind:     global_buffer
      - .offset:         24
        .size:           4
        .value_kind:     by_value
      - .offset:         28
        .size:           4
        .value_kind:     by_value
      - .offset:         32
        .size:           4
        .value_kind:     by_value
      - .offset:         36
        .size:           12
        .value_kind:     by_value
      - .offset:         48
        .size:           12
        .value_kind:     by_value
      - .offset:         60
        .size:           12
        .value_kind:     by_value
      - .offset:         72
        .size:           12
        .value_kind:     by_value
      - .offset:         84
        .size:           12
        .value_kind:     by_value
      - .offset:         96
        .size:           4
        .value_kind:     by_value
      - .offset:         100
        .size:           4
        .value_kind:     by_value
      - .offset:         104
        .size:           4
        .value_kind:     by_value
      - .offset:         108
        .size:           4
        .value_kind:     by_value
      - .offset:         112
        .size:           4
        .value_kind:     by_value
      - .offset:         116
        .size:           4
        .value_kind:     by_value
      - .offset:         120
        .size:           4
        .value_kind:     by_value
      - .offset:         124
        .size:           4
        .value_kind:     by_value
      - .offset:         128
        .size:           4
        .value_kind:     by_value
      - .offset:         132
        .size:           4
        .value_kind:     by_value
      - .offset:         136
        .size:           4
        .value_kind:     by_value
      - .address_space:  global
        .offset:         144
        .size:           8
        .value_kind:     global_buffer
      - .address_space:  global
        .offset:         152
        .size:           8
        .value_kind:     global_buffer
      - .address_space:  global
        .offset:         160
        .size:           8
        .value_kind:     global_buffer
      - .address_space:  global
        .offset:         168
        .size:           8
        .value_kind:     global_buffer
      - .address_space:  global
        .offset:         176
        .size:           8
        .value_kind:     global_buffer
      - .offset:         184
        .size:           4
        .value_kind:     hidden_block_count_x
      - .offset:         188
        .size:           4
        .value_kind:     hidden_block_count_y
      - .offset:         192
        .size:           4
        .value_kind:     hidden_block_count_z
      - .offset:         196
        .size:           2
        .value_kind:     hidden_group_size_x
      - .offset:         198
        .size:           2
        .value_kind:     hidden_group_size_y
      - .offset:         200
        .size:           2
        .value_kind:     hidden_group_size_z
      - .offset:         202
        .size:           2
        .value_kind:     hidden_remainder_x
      - .offset:         204
        .size:           2
        .value_kind:     hidden_remainder_y
      - .offset:         206
        .size:           2
        .value_kind:     hidden_remainder_z
      - .offset:         224
        .size:           8
        .value_kind:     hidden_global_offset_x
      - .offset:         232
        .size:           8
        .value_kind:     hidden_global_offset_y
      - .offset:         240
        .size:           8
        .value_kind:     hidden_global_offset_z
      - .offset:         248
        .size:           2
        .value_kind:     hidden_grid_dims
    .group_segment_fixed_size: 0
    .kernarg_segment_align: 8
    .kernarg_segment_size: 440
    .language:       OpenCL C
    .language_version:
      - 2
      - 0
    .max_flat_workgroup_size: 1024
    .name:           _ZL11k_bin_bcastIXadL_ZL6op_mulffEE6__halfS0_S0_JPKS0_S2_S2_S2_S2_EEvPKT0_PKT1_PT2_iii15HIP_vector_typeIjLj3EESC_SC_SC_SC_iiiiiiiiiiiDpT3_
    .private_segment_fixed_size: 0
    .sgpr_count:     48
    .sgpr_spill_count: 0
    .symbol:         _ZL11k_bin_bcastIXadL_ZL6op_mulffEE6__halfS0_S0_JPKS0_S2_S2_S2_S2_EEvPKT0_PKT1_PT2_iii15HIP_vector_typeIjLj3EESC_SC_SC_SC_iiiiiiiiiiiDpT3_.kd
    .uniform_work_group_size: 1
    .uses_dynamic_stack: false
    .vgpr_count:     28
    .vgpr_spill_count: 0
    .wavefront_size: 64
  - .args:
      - .address_space:  global
        .offset:         0
        .size:           8
        .value_kind:     global_buffer
      - .address_space:  global
        .offset:         8
        .size:           8
        .value_kind:     global_buffer
      - .address_space:  global
        .offset:         16
        .size:           8
        .value_kind:     global_buffer
      - .offset:         24
        .size:           12
        .value_kind:     by_value
      - .offset:         36
        .size:           12
        .value_kind:     by_value
      - .offset:         48
        .size:           12
        .value_kind:     by_value
      - .offset:         60
        .size:           4
        .value_kind:     by_value
      - .offset:         64
        .size:           12
        .value_kind:     by_value
      - .offset:         76
        .size:           12
        .value_kind:     by_value
      - .offset:         88
        .size:           12
        .value_kind:     by_value
      - .offset:         100
        .size:           12
        .value_kind:     by_value
      - .offset:         112
        .size:           12
        .value_kind:     by_value
      - .offset:         124
        .size:           12
        .value_kind:     by_value
      - .offset:         136
        .size:           4
        .value_kind:     by_value
      - .offset:         140
        .size:           4
        .value_kind:     by_value
      - .offset:         144
        .size:           4
        .value_kind:     by_value
      - .offset:         148
        .size:           4
        .value_kind:     by_value
      - .offset:         152
        .size:           4
        .value_kind:     by_value
      - .offset:         156
        .size:           4
        .value_kind:     by_value
      - .offset:         160
        .size:           4
        .value_kind:     by_value
      - .offset:         164
        .size:           4
        .value_kind:     by_value
      - .offset:         168
        .size:           4
        .value_kind:     by_value
      - .offset:         172
        .size:           4
        .value_kind:     by_value
      - .offset:         176
        .size:           4
        .value_kind:     by_value
      - .address_space:  global
        .offset:         184
        .size:           8
        .value_kind:     global_buffer
      - .address_space:  global
        .offset:         192
        .size:           8
        .value_kind:     global_buffer
      - .address_space:  global
        .offset:         200
        .size:           8
        .value_kind:     global_buffer
      - .address_space:  global
        .offset:         208
        .size:           8
        .value_kind:     global_buffer
      - .address_space:  global
        .offset:         216
        .size:           8
        .value_kind:     global_buffer
      - .offset:         224
        .size:           4
        .value_kind:     hidden_block_count_x
      - .offset:         228
        .size:           4
        .value_kind:     hidden_block_count_y
      - .offset:         232
        .size:           4
        .value_kind:     hidden_block_count_z
      - .offset:         236
        .size:           2
        .value_kind:     hidden_group_size_x
      - .offset:         238
        .size:           2
        .value_kind:     hidden_group_size_y
      - .offset:         240
        .size:           2
        .value_kind:     hidden_group_size_z
      - .offset:         242
        .size:           2
        .value_kind:     hidden_remainder_x
      - .offset:         244
        .size:           2
        .value_kind:     hidden_remainder_y
      - .offset:         246
        .size:           2
        .value_kind:     hidden_remainder_z
      - .offset:         264
        .size:           8
        .value_kind:     hidden_global_offset_x
      - .offset:         272
        .size:           8
        .value_kind:     hidden_global_offset_y
      - .offset:         280
        .size:           8
        .value_kind:     hidden_global_offset_z
      - .offset:         288
        .size:           2
        .value_kind:     hidden_grid_dims
    .group_segment_fixed_size: 0
    .kernarg_segment_align: 8
    .kernarg_segment_size: 480
    .language:       OpenCL C
    .language_version:
      - 2
      - 0
    .max_flat_workgroup_size: 1024
    .name:           _ZL19k_bin_bcast_unravelIXadL_ZL6op_mulffEE6__halffS0_JPKfS2_S2_S2_S2_EEvPKT0_PKT1_PT2_15HIP_vector_typeIjLj3EESC_SC_jSC_SC_SC_SC_SC_SC_iiiiiiiiiiiDpT3_
    .private_segment_fixed_size: 0
    .sgpr_count:     32
    .sgpr_spill_count: 0
    .symbol:         _ZL19k_bin_bcast_unravelIXadL_ZL6op_mulffEE6__halffS0_JPKfS2_S2_S2_S2_EEvPKT0_PKT1_PT2_15HIP_vector_typeIjLj3EESC_SC_jSC_SC_SC_SC_SC_SC_iiiiiiiiiiiDpT3_.kd
    .uniform_work_group_size: 1
    .uses_dynamic_stack: false
    .vgpr_count:     14
    .vgpr_spill_count: 0
    .wavefront_size: 64
  - .args:
      - .address_space:  global
        .offset:         0
        .size:           8
        .value_kind:     global_buffer
      - .address_space:  global
        .offset:         8
        .size:           8
        .value_kind:     global_buffer
      - .address_space:  global
        .offset:         16
        .size:           8
        .value_kind:     global_buffer
      - .offset:         24
        .size:           4
        .value_kind:     by_value
      - .offset:         28
        .size:           4
        .value_kind:     by_value
      - .offset:         32
        .size:           4
        .value_kind:     by_value
      - .offset:         36
        .size:           12
        .value_kind:     by_value
      - .offset:         48
        .size:           12
        .value_kind:     by_value
      - .offset:         60
        .size:           12
        .value_kind:     by_value
      - .offset:         72
        .size:           12
        .value_kind:     by_value
      - .offset:         84
        .size:           12
        .value_kind:     by_value
      - .offset:         96
        .size:           4
        .value_kind:     by_value
      - .offset:         100
        .size:           4
        .value_kind:     by_value
      - .offset:         104
        .size:           4
        .value_kind:     by_value
      - .offset:         108
        .size:           4
        .value_kind:     by_value
      - .offset:         112
        .size:           4
        .value_kind:     by_value
      - .offset:         116
        .size:           4
        .value_kind:     by_value
      - .offset:         120
        .size:           4
        .value_kind:     by_value
      - .offset:         124
        .size:           4
        .value_kind:     by_value
      - .offset:         128
        .size:           4
        .value_kind:     by_value
      - .offset:         132
        .size:           4
        .value_kind:     by_value
      - .offset:         136
        .size:           4
        .value_kind:     by_value
      - .address_space:  global
        .offset:         144
        .size:           8
        .value_kind:     global_buffer
      - .address_space:  global
        .offset:         152
        .size:           8
        .value_kind:     global_buffer
      - .address_space:  global
        .offset:         160
        .size:           8
        .value_kind:     global_buffer
      - .address_space:  global
        .offset:         168
        .size:           8
        .value_kind:     global_buffer
      - .address_space:  global
        .offset:         176
        .size:           8
        .value_kind:     global_buffer
      - .offset:         184
        .size:           4
        .value_kind:     hidden_block_count_x
      - .offset:         188
        .size:           4
        .value_kind:     hidden_block_count_y
      - .offset:         192
        .size:           4
        .value_kind:     hidden_block_count_z
      - .offset:         196
        .size:           2
        .value_kind:     hidden_group_size_x
      - .offset:         198
        .size:           2
        .value_kind:     hidden_group_size_y
      - .offset:         200
        .size:           2
        .value_kind:     hidden_group_size_z
      - .offset:         202
        .size:           2
        .value_kind:     hidden_remainder_x
      - .offset:         204
        .size:           2
        .value_kind:     hidden_remainder_y
      - .offset:         206
        .size:           2
        .value_kind:     hidden_remainder_z
      - .offset:         224
        .size:           8
        .value_kind:     hidden_global_offset_x
      - .offset:         232
        .size:           8
        .value_kind:     hidden_global_offset_y
      - .offset:         240
        .size:           8
        .value_kind:     hidden_global_offset_z
      - .offset:         248
        .size:           2
        .value_kind:     hidden_grid_dims
    .group_segment_fixed_size: 0
    .kernarg_segment_align: 8
    .kernarg_segment_size: 440
    .language:       OpenCL C
    .language_version:
      - 2
      - 0
    .max_flat_workgroup_size: 1024
    .name:           _ZL11k_bin_bcastIXadL_ZL6op_mulffEE6__halffS0_JPKfS2_S2_S2_S2_EEvPKT0_PKT1_PT2_iii15HIP_vector_typeIjLj3EESC_SC_SC_SC_iiiiiiiiiiiDpT3_
    .private_segment_fixed_size: 0
    .sgpr_count:     48
    .sgpr_spill_count: 0
    .symbol:         _ZL11k_bin_bcastIXadL_ZL6op_mulffEE6__halffS0_JPKfS2_S2_S2_S2_EEvPKT0_PKT1_PT2_iii15HIP_vector_typeIjLj3EESC_SC_SC_SC_iiiiiiiiiiiDpT3_.kd
    .uniform_work_group_size: 1
    .uses_dynamic_stack: false
    .vgpr_count:     29
    .vgpr_spill_count: 0
    .wavefront_size: 64
  - .args:
      - .address_space:  global
        .offset:         0
        .size:           8
        .value_kind:     global_buffer
      - .address_space:  global
        .offset:         8
        .size:           8
        .value_kind:     global_buffer
      - .address_space:  global
        .offset:         16
        .size:           8
        .value_kind:     global_buffer
      - .offset:         24
        .size:           12
        .value_kind:     by_value
      - .offset:         36
        .size:           12
        .value_kind:     by_value
      - .offset:         48
        .size:           12
        .value_kind:     by_value
      - .offset:         60
        .size:           4
        .value_kind:     by_value
      - .offset:         64
        .size:           12
        .value_kind:     by_value
      - .offset:         76
        .size:           12
        .value_kind:     by_value
      - .offset:         88
        .size:           12
        .value_kind:     by_value
      - .offset:         100
        .size:           12
        .value_kind:     by_value
      - .offset:         112
        .size:           12
        .value_kind:     by_value
      - .offset:         124
        .size:           12
        .value_kind:     by_value
      - .offset:         136
        .size:           4
        .value_kind:     by_value
      - .offset:         140
        .size:           4
        .value_kind:     by_value
      - .offset:         144
        .size:           4
        .value_kind:     by_value
      - .offset:         148
        .size:           4
        .value_kind:     by_value
      - .offset:         152
        .size:           4
        .value_kind:     by_value
      - .offset:         156
        .size:           4
        .value_kind:     by_value
      - .offset:         160
        .size:           4
        .value_kind:     by_value
      - .offset:         164
        .size:           4
        .value_kind:     by_value
      - .offset:         168
        .size:           4
        .value_kind:     by_value
      - .offset:         172
        .size:           4
        .value_kind:     by_value
      - .offset:         176
        .size:           4
        .value_kind:     by_value
      - .address_space:  global
        .offset:         184
        .size:           8
        .value_kind:     global_buffer
      - .address_space:  global
        .offset:         192
        .size:           8
        .value_kind:     global_buffer
      - .address_space:  global
        .offset:         200
        .size:           8
        .value_kind:     global_buffer
      - .address_space:  global
        .offset:         208
        .size:           8
        .value_kind:     global_buffer
      - .address_space:  global
        .offset:         216
        .size:           8
        .value_kind:     global_buffer
      - .offset:         224
        .size:           4
        .value_kind:     hidden_block_count_x
      - .offset:         228
        .size:           4
        .value_kind:     hidden_block_count_y
      - .offset:         232
        .size:           4
        .value_kind:     hidden_block_count_z
      - .offset:         236
        .size:           2
        .value_kind:     hidden_group_size_x
      - .offset:         238
        .size:           2
        .value_kind:     hidden_group_size_y
      - .offset:         240
        .size:           2
        .value_kind:     hidden_group_size_z
      - .offset:         242
        .size:           2
        .value_kind:     hidden_remainder_x
      - .offset:         244
        .size:           2
        .value_kind:     hidden_remainder_y
      - .offset:         246
        .size:           2
        .value_kind:     hidden_remainder_z
      - .offset:         264
        .size:           8
        .value_kind:     hidden_global_offset_x
      - .offset:         272
        .size:           8
        .value_kind:     hidden_global_offset_y
      - .offset:         280
        .size:           8
        .value_kind:     hidden_global_offset_z
      - .offset:         288
        .size:           2
        .value_kind:     hidden_grid_dims
    .group_segment_fixed_size: 0
    .kernarg_segment_align: 8
    .kernarg_segment_size: 480
    .language:       OpenCL C
    .language_version:
      - 2
      - 0
    .max_flat_workgroup_size: 1024
    .name:           _ZL19k_bin_bcast_unravelIXadL_ZL6op_mulffEE6__halfffJPKfS2_S2_S2_S2_EEvPKT0_PKT1_PT2_15HIP_vector_typeIjLj3EESC_SC_jSC_SC_SC_SC_SC_SC_iiiiiiiiiiiDpT3_
    .private_segment_fixed_size: 0
    .sgpr_count:     32
    .sgpr_spill_count: 0
    .symbol:         _ZL19k_bin_bcast_unravelIXadL_ZL6op_mulffEE6__halfffJPKfS2_S2_S2_S2_EEvPKT0_PKT1_PT2_15HIP_vector_typeIjLj3EESC_SC_jSC_SC_SC_SC_SC_SC_iiiiiiiiiiiDpT3_.kd
    .uniform_work_group_size: 1
    .uses_dynamic_stack: false
    .vgpr_count:     14
    .vgpr_spill_count: 0
    .wavefront_size: 64
  - .args:
      - .address_space:  global
        .offset:         0
        .size:           8
        .value_kind:     global_buffer
      - .address_space:  global
        .offset:         8
        .size:           8
        .value_kind:     global_buffer
      - .address_space:  global
        .offset:         16
        .size:           8
        .value_kind:     global_buffer
      - .offset:         24
        .size:           4
        .value_kind:     by_value
      - .offset:         28
        .size:           4
        .value_kind:     by_value
      - .offset:         32
        .size:           4
        .value_kind:     by_value
      - .offset:         36
        .size:           12
        .value_kind:     by_value
      - .offset:         48
        .size:           12
        .value_kind:     by_value
      - .offset:         60
        .size:           12
        .value_kind:     by_value
      - .offset:         72
        .size:           12
        .value_kind:     by_value
      - .offset:         84
        .size:           12
        .value_kind:     by_value
      - .offset:         96
        .size:           4
        .value_kind:     by_value
      - .offset:         100
        .size:           4
        .value_kind:     by_value
      - .offset:         104
        .size:           4
        .value_kind:     by_value
      - .offset:         108
        .size:           4
        .value_kind:     by_value
      - .offset:         112
        .size:           4
        .value_kind:     by_value
      - .offset:         116
        .size:           4
        .value_kind:     by_value
      - .offset:         120
        .size:           4
        .value_kind:     by_value
      - .offset:         124
        .size:           4
        .value_kind:     by_value
      - .offset:         128
        .size:           4
        .value_kind:     by_value
      - .offset:         132
        .size:           4
        .value_kind:     by_value
      - .offset:         136
        .size:           4
        .value_kind:     by_value
      - .address_space:  global
        .offset:         144
        .size:           8
        .value_kind:     global_buffer
      - .address_space:  global
        .offset:         152
        .size:           8
        .value_kind:     global_buffer
      - .address_space:  global
        .offset:         160
        .size:           8
        .value_kind:     global_buffer
      - .address_space:  global
        .offset:         168
        .size:           8
        .value_kind:     global_buffer
      - .address_space:  global
        .offset:         176
        .size:           8
        .value_kind:     global_buffer
      - .offset:         184
        .size:           4
        .value_kind:     hidden_block_count_x
      - .offset:         188
        .size:           4
        .value_kind:     hidden_block_count_y
      - .offset:         192
        .size:           4
        .value_kind:     hidden_block_count_z
      - .offset:         196
        .size:           2
        .value_kind:     hidden_group_size_x
      - .offset:         198
        .size:           2
        .value_kind:     hidden_group_size_y
      - .offset:         200
        .size:           2
        .value_kind:     hidden_group_size_z
      - .offset:         202
        .size:           2
        .value_kind:     hidden_remainder_x
      - .offset:         204
        .size:           2
        .value_kind:     hidden_remainder_y
      - .offset:         206
        .size:           2
        .value_kind:     hidden_remainder_z
      - .offset:         224
        .size:           8
        .value_kind:     hidden_global_offset_x
      - .offset:         232
        .size:           8
        .value_kind:     hidden_global_offset_y
      - .offset:         240
        .size:           8
        .value_kind:     hidden_global_offset_z
      - .offset:         248
        .size:           2
        .value_kind:     hidden_grid_dims
    .group_segment_fixed_size: 0
    .kernarg_segment_align: 8
    .kernarg_segment_size: 440
    .language:       OpenCL C
    .language_version:
      - 2
      - 0
    .max_flat_workgroup_size: 1024
    .name:           _ZL11k_bin_bcastIXadL_ZL6op_mulffEE6__halfffJPKfS2_S2_S2_S2_EEvPKT0_PKT1_PT2_iii15HIP_vector_typeIjLj3EESC_SC_SC_SC_iiiiiiiiiiiDpT3_
    .private_segment_fixed_size: 0
    .sgpr_count:     48
    .sgpr_spill_count: 0
    .symbol:         _ZL11k_bin_bcastIXadL_ZL6op_mulffEE6__halfffJPKfS2_S2_S2_S2_EEvPKT0_PKT1_PT2_iii15HIP_vector_typeIjLj3EESC_SC_SC_SC_iiiiiiiiiiiDpT3_.kd
    .uniform_work_group_size: 1
    .uses_dynamic_stack: false
    .vgpr_count:     29
    .vgpr_spill_count: 0
    .wavefront_size: 64
  - .args:
      - .address_space:  global
        .offset:         0
        .size:           8
        .value_kind:     global_buffer
      - .address_space:  global
        .offset:         8
        .size:           8
        .value_kind:     global_buffer
      - .address_space:  global
        .offset:         16
        .size:           8
        .value_kind:     global_buffer
      - .offset:         24
        .size:           12
        .value_kind:     by_value
      - .offset:         36
        .size:           12
        .value_kind:     by_value
      - .offset:         48
        .size:           12
        .value_kind:     by_value
      - .offset:         60
        .size:           4
        .value_kind:     by_value
      - .offset:         64
        .size:           12
        .value_kind:     by_value
      - .offset:         76
        .size:           12
        .value_kind:     by_value
      - .offset:         88
        .size:           12
        .value_kind:     by_value
      - .offset:         100
        .size:           12
        .value_kind:     by_value
      - .offset:         112
        .size:           12
        .value_kind:     by_value
      - .offset:         124
        .size:           12
        .value_kind:     by_value
      - .offset:         136
        .size:           4
        .value_kind:     by_value
      - .offset:         140
        .size:           4
        .value_kind:     by_value
      - .offset:         144
        .size:           4
        .value_kind:     by_value
      - .offset:         148
        .size:           4
        .value_kind:     by_value
      - .offset:         152
        .size:           4
        .value_kind:     by_value
      - .offset:         156
        .size:           4
        .value_kind:     by_value
      - .offset:         160
        .size:           4
        .value_kind:     by_value
      - .offset:         164
        .size:           4
        .value_kind:     by_value
      - .offset:         168
        .size:           4
        .value_kind:     by_value
      - .offset:         172
        .size:           4
        .value_kind:     by_value
      - .offset:         176
        .size:           4
        .value_kind:     by_value
      - .address_space:  global
        .offset:         184
        .size:           8
        .value_kind:     global_buffer
      - .address_space:  global
        .offset:         192
        .size:           8
        .value_kind:     global_buffer
      - .address_space:  global
        .offset:         200
        .size:           8
        .value_kind:     global_buffer
      - .address_space:  global
        .offset:         208
        .size:           8
        .value_kind:     global_buffer
      - .address_space:  global
        .offset:         216
        .size:           8
        .value_kind:     global_buffer
      - .address_space:  global
        .offset:         224
        .size:           8
        .value_kind:     global_buffer
      - .offset:         232
        .size:           4
        .value_kind:     hidden_block_count_x
      - .offset:         236
        .size:           4
        .value_kind:     hidden_block_count_y
      - .offset:         240
        .size:           4
        .value_kind:     hidden_block_count_z
      - .offset:         244
        .size:           2
        .value_kind:     hidden_group_size_x
      - .offset:         246
        .size:           2
        .value_kind:     hidden_group_size_y
      - .offset:         248
        .size:           2
        .value_kind:     hidden_group_size_z
      - .offset:         250
        .size:           2
        .value_kind:     hidden_remainder_x
      - .offset:         252
        .size:           2
        .value_kind:     hidden_remainder_y
      - .offset:         254
        .size:           2
        .value_kind:     hidden_remainder_z
      - .offset:         272
        .size:           8
        .value_kind:     hidden_global_offset_x
      - .offset:         280
        .size:           8
        .value_kind:     hidden_global_offset_y
      - .offset:         288
        .size:           8
        .value_kind:     hidden_global_offset_z
      - .offset:         296
        .size:           2
        .value_kind:     hidden_grid_dims
    .group_segment_fixed_size: 0
    .kernarg_segment_align: 8
    .kernarg_segment_size: 488
    .language:       OpenCL C
    .language_version:
      - 2
      - 0
    .max_flat_workgroup_size: 1024
    .name:           _ZL19k_bin_bcast_unravelIXadL_ZL6op_mulffEEfffJPKfS1_S1_S1_S1_S1_EEvPKT0_PKT1_PT2_15HIP_vector_typeIjLj3EESB_SB_jSB_SB_SB_SB_SB_SB_iiiiiiiiiiiDpT3_
    .private_segment_fixed_size: 0
    .sgpr_count:     32
    .sgpr_spill_count: 0
    .symbol:         _ZL19k_bin_bcast_unravelIXadL_ZL6op_mulffEEfffJPKfS1_S1_S1_S1_S1_EEvPKT0_PKT1_PT2_15HIP_vector_typeIjLj3EESB_SB_jSB_SB_SB_SB_SB_SB_iiiiiiiiiiiDpT3_.kd
    .uniform_work_group_size: 1
    .uses_dynamic_stack: false
    .vgpr_count:     15
    .vgpr_spill_count: 0
    .wavefront_size: 64
  - .args:
      - .address_space:  global
        .offset:         0
        .size:           8
        .value_kind:     global_buffer
      - .address_space:  global
        .offset:         8
        .size:           8
        .value_kind:     global_buffer
      - .address_space:  global
        .offset:         16
        .size:           8
        .value_kind:     global_buffer
      - .offset:         24
        .size:           4
        .value_kind:     by_value
      - .offset:         28
        .size:           4
        .value_kind:     by_value
      - .offset:         32
        .size:           4
        .value_kind:     by_value
      - .offset:         36
        .size:           12
        .value_kind:     by_value
      - .offset:         48
        .size:           12
        .value_kind:     by_value
      - .offset:         60
        .size:           12
        .value_kind:     by_value
      - .offset:         72
        .size:           12
        .value_kind:     by_value
      - .offset:         84
        .size:           12
        .value_kind:     by_value
      - .offset:         96
        .size:           4
        .value_kind:     by_value
      - .offset:         100
        .size:           4
        .value_kind:     by_value
      - .offset:         104
        .size:           4
        .value_kind:     by_value
      - .offset:         108
        .size:           4
        .value_kind:     by_value
      - .offset:         112
        .size:           4
        .value_kind:     by_value
      - .offset:         116
        .size:           4
        .value_kind:     by_value
      - .offset:         120
        .size:           4
        .value_kind:     by_value
      - .offset:         124
        .size:           4
        .value_kind:     by_value
      - .offset:         128
        .size:           4
        .value_kind:     by_value
      - .offset:         132
        .size:           4
        .value_kind:     by_value
      - .offset:         136
        .size:           4
        .value_kind:     by_value
      - .address_space:  global
        .offset:         144
        .size:           8
        .value_kind:     global_buffer
      - .address_space:  global
        .offset:         152
        .size:           8
        .value_kind:     global_buffer
      - .address_space:  global
        .offset:         160
        .size:           8
        .value_kind:     global_buffer
      - .address_space:  global
        .offset:         168
        .size:           8
        .value_kind:     global_buffer
      - .address_space:  global
        .offset:         176
        .size:           8
        .value_kind:     global_buffer
      - .address_space:  global
        .offset:         184
        .size:           8
        .value_kind:     global_buffer
      - .offset:         192
        .size:           4
        .value_kind:     hidden_block_count_x
      - .offset:         196
        .size:           4
        .value_kind:     hidden_block_count_y
      - .offset:         200
        .size:           4
        .value_kind:     hidden_block_count_z
      - .offset:         204
        .size:           2
        .value_kind:     hidden_group_size_x
      - .offset:         206
        .size:           2
        .value_kind:     hidden_group_size_y
      - .offset:         208
        .size:           2
        .value_kind:     hidden_group_size_z
      - .offset:         210
        .size:           2
        .value_kind:     hidden_remainder_x
      - .offset:         212
        .size:           2
        .value_kind:     hidden_remainder_y
      - .offset:         214
        .size:           2
        .value_kind:     hidden_remainder_z
      - .offset:         232
        .size:           8
        .value_kind:     hidden_global_offset_x
      - .offset:         240
        .size:           8
        .value_kind:     hidden_global_offset_y
      - .offset:         248
        .size:           8
        .value_kind:     hidden_global_offset_z
      - .offset:         256
        .size:           2
        .value_kind:     hidden_grid_dims
    .group_segment_fixed_size: 0
    .kernarg_segment_align: 8
    .kernarg_segment_size: 448
    .language:       OpenCL C
    .language_version:
      - 2
      - 0
    .max_flat_workgroup_size: 1024
    .name:           _ZL11k_bin_bcastIXadL_ZL6op_mulffEEfffJPKfS1_S1_S1_S1_S1_EEvPKT0_PKT1_PT2_iii15HIP_vector_typeIjLj3EESB_SB_SB_SB_iiiiiiiiiiiDpT3_
    .private_segment_fixed_size: 0
    .sgpr_count:     48
    .sgpr_spill_count: 0
    .symbol:         _ZL11k_bin_bcastIXadL_ZL6op_mulffEEfffJPKfS1_S1_S1_S1_S1_EEvPKT0_PKT1_PT2_iii15HIP_vector_typeIjLj3EESB_SB_SB_SB_iiiiiiiiiiiDpT3_.kd
    .uniform_work_group_size: 1
    .uses_dynamic_stack: false
    .vgpr_count:     33
    .vgpr_spill_count: 0
    .wavefront_size: 64
  - .args:
      - .address_space:  global
        .offset:         0
        .size:           8
        .value_kind:     global_buffer
      - .address_space:  global
        .offset:         8
        .size:           8
        .value_kind:     global_buffer
      - .address_space:  global
        .offset:         16
        .size:           8
        .value_kind:     global_buffer
      - .offset:         24
        .size:           12
        .value_kind:     by_value
      - .offset:         36
        .size:           12
        .value_kind:     by_value
      - .offset:         48
        .size:           12
        .value_kind:     by_value
      - .offset:         60
        .size:           4
        .value_kind:     by_value
      - .offset:         64
        .size:           12
        .value_kind:     by_value
      - .offset:         76
        .size:           12
        .value_kind:     by_value
      - .offset:         88
        .size:           12
        .value_kind:     by_value
      - .offset:         100
        .size:           12
        .value_kind:     by_value
      - .offset:         112
        .size:           12
        .value_kind:     by_value
      - .offset:         124
        .size:           12
        .value_kind:     by_value
      - .offset:         136
        .size:           4
        .value_kind:     by_value
      - .offset:         140
        .size:           4
        .value_kind:     by_value
      - .offset:         144
        .size:           4
        .value_kind:     by_value
      - .offset:         148
        .size:           4
        .value_kind:     by_value
      - .offset:         152
        .size:           4
        .value_kind:     by_value
      - .offset:         156
        .size:           4
        .value_kind:     by_value
      - .offset:         160
        .size:           4
        .value_kind:     by_value
      - .offset:         164
        .size:           4
        .value_kind:     by_value
      - .offset:         168
        .size:           4
        .value_kind:     by_value
      - .offset:         172
        .size:           4
        .value_kind:     by_value
      - .offset:         176
        .size:           4
        .value_kind:     by_value
      - .address_space:  global
        .offset:         184
        .size:           8
        .value_kind:     global_buffer
      - .address_space:  global
        .offset:         192
        .size:           8
        .value_kind:     global_buffer
      - .address_space:  global
        .offset:         200
        .size:           8
        .value_kind:     global_buffer
      - .address_space:  global
        .offset:         208
        .size:           8
        .value_kind:     global_buffer
      - .address_space:  global
        .offset:         216
        .size:           8
        .value_kind:     global_buffer
      - .address_space:  global
        .offset:         224
        .size:           8
        .value_kind:     global_buffer
      - .offset:         232
        .size:           4
        .value_kind:     hidden_block_count_x
      - .offset:         236
        .size:           4
        .value_kind:     hidden_block_count_y
      - .offset:         240
        .size:           4
        .value_kind:     hidden_block_count_z
      - .offset:         244
        .size:           2
        .value_kind:     hidden_group_size_x
      - .offset:         246
        .size:           2
        .value_kind:     hidden_group_size_y
      - .offset:         248
        .size:           2
        .value_kind:     hidden_group_size_z
      - .offset:         250
        .size:           2
        .value_kind:     hidden_remainder_x
      - .offset:         252
        .size:           2
        .value_kind:     hidden_remainder_y
      - .offset:         254
        .size:           2
        .value_kind:     hidden_remainder_z
      - .offset:         272
        .size:           8
        .value_kind:     hidden_global_offset_x
      - .offset:         280
        .size:           8
        .value_kind:     hidden_global_offset_y
      - .offset:         288
        .size:           8
        .value_kind:     hidden_global_offset_z
      - .offset:         296
        .size:           2
        .value_kind:     hidden_grid_dims
    .group_segment_fixed_size: 0
    .kernarg_segment_align: 8
    .kernarg_segment_size: 488
    .language:       OpenCL C
    .language_version:
      - 2
      - 0
    .max_flat_workgroup_size: 1024
    .name:           _ZL19k_bin_bcast_unravelIXadL_ZL6op_mulffEE6__halfS0_S0_JPKS0_S2_S2_S2_S2_S2_EEvPKT0_PKT1_PT2_15HIP_vector_typeIjLj3EESC_SC_jSC_SC_SC_SC_SC_SC_iiiiiiiiiiiDpT3_
    .private_segment_fixed_size: 0
    .sgpr_count:     32
    .sgpr_spill_count: 0
    .symbol:         _ZL19k_bin_bcast_unravelIXadL_ZL6op_mulffEE6__halfS0_S0_JPKS0_S2_S2_S2_S2_S2_EEvPKT0_PKT1_PT2_15HIP_vector_typeIjLj3EESC_SC_jSC_SC_SC_SC_SC_SC_iiiiiiiiiiiDpT3_.kd
    .uniform_work_group_size: 1
    .uses_dynamic_stack: false
    .vgpr_count:     15
    .vgpr_spill_count: 0
    .wavefront_size: 64
  - .args:
      - .address_space:  global
        .offset:         0
        .size:           8
        .value_kind:     global_buffer
      - .address_space:  global
        .offset:         8
        .size:           8
        .value_kind:     global_buffer
      - .address_space:  global
        .offset:         16
        .size:           8
        .value_kind:     global_buffer
      - .offset:         24
        .size:           4
        .value_kind:     by_value
      - .offset:         28
        .size:           4
        .value_kind:     by_value
      - .offset:         32
        .size:           4
        .value_kind:     by_value
      - .offset:         36
        .size:           12
        .value_kind:     by_value
      - .offset:         48
        .size:           12
        .value_kind:     by_value
      - .offset:         60
        .size:           12
        .value_kind:     by_value
      - .offset:         72
        .size:           12
        .value_kind:     by_value
      - .offset:         84
        .size:           12
        .value_kind:     by_value
      - .offset:         96
        .size:           4
        .value_kind:     by_value
      - .offset:         100
        .size:           4
        .value_kind:     by_value
      - .offset:         104
        .size:           4
        .value_kind:     by_value
      - .offset:         108
        .size:           4
        .value_kind:     by_value
      - .offset:         112
        .size:           4
        .value_kind:     by_value
      - .offset:         116
        .size:           4
        .value_kind:     by_value
      - .offset:         120
        .size:           4
        .value_kind:     by_value
      - .offset:         124
        .size:           4
        .value_kind:     by_value
      - .offset:         128
        .size:           4
        .value_kind:     by_value
      - .offset:         132
        .size:           4
        .value_kind:     by_value
      - .offset:         136
        .size:           4
        .value_kind:     by_value
      - .address_space:  global
        .offset:         144
        .size:           8
        .value_kind:     global_buffer
      - .address_space:  global
        .offset:         152
        .size:           8
        .value_kind:     global_buffer
      - .address_space:  global
        .offset:         160
        .size:           8
        .value_kind:     global_buffer
      - .address_space:  global
        .offset:         168
        .size:           8
        .value_kind:     global_buffer
      - .address_space:  global
        .offset:         176
        .size:           8
        .value_kind:     global_buffer
      - .address_space:  global
        .offset:         184
        .size:           8
        .value_kind:     global_buffer
      - .offset:         192
        .size:           4
        .value_kind:     hidden_block_count_x
      - .offset:         196
        .size:           4
        .value_kind:     hidden_block_count_y
      - .offset:         200
        .size:           4
        .value_kind:     hidden_block_count_z
      - .offset:         204
        .size:           2
        .value_kind:     hidden_group_size_x
      - .offset:         206
        .size:           2
        .value_kind:     hidden_group_size_y
      - .offset:         208
        .size:           2
        .value_kind:     hidden_group_size_z
      - .offset:         210
        .size:           2
        .value_kind:     hidden_remainder_x
      - .offset:         212
        .size:           2
        .value_kind:     hidden_remainder_y
      - .offset:         214
        .size:           2
        .value_kind:     hidden_remainder_z
      - .offset:         232
        .size:           8
        .value_kind:     hidden_global_offset_x
      - .offset:         240
        .size:           8
        .value_kind:     hidden_global_offset_y
      - .offset:         248
        .size:           8
        .value_kind:     hidden_global_offset_z
      - .offset:         256
        .size:           2
        .value_kind:     hidden_grid_dims
    .group_segment_fixed_size: 0
    .kernarg_segment_align: 8
    .kernarg_segment_size: 448
    .language:       OpenCL C
    .language_version:
      - 2
      - 0
    .max_flat_workgroup_size: 1024
    .name:           _ZL11k_bin_bcastIXadL_ZL6op_mulffEE6__halfS0_S0_JPKS0_S2_S2_S2_S2_S2_EEvPKT0_PKT1_PT2_iii15HIP_vector_typeIjLj3EESC_SC_SC_SC_iiiiiiiiiiiDpT3_
    .private_segment_fixed_size: 0
    .sgpr_count:     48
    .sgpr_spill_count: 0
    .symbol:         _ZL11k_bin_bcastIXadL_ZL6op_mulffEE6__halfS0_S0_JPKS0_S2_S2_S2_S2_S2_EEvPKT0_PKT1_PT2_iii15HIP_vector_typeIjLj3EESC_SC_SC_SC_iiiiiiiiiiiDpT3_.kd
    .uniform_work_group_size: 1
    .uses_dynamic_stack: false
    .vgpr_count:     32
    .vgpr_spill_count: 0
    .wavefront_size: 64
  - .args:
      - .address_space:  global
        .offset:         0
        .size:           8
        .value_kind:     global_buffer
      - .address_space:  global
        .offset:         8
        .size:           8
        .value_kind:     global_buffer
      - .address_space:  global
        .offset:         16
        .size:           8
        .value_kind:     global_buffer
      - .offset:         24
        .size:           12
        .value_kind:     by_value
      - .offset:         36
        .size:           12
        .value_kind:     by_value
      - .offset:         48
        .size:           12
        .value_kind:     by_value
      - .offset:         60
        .size:           4
        .value_kind:     by_value
      - .offset:         64
        .size:           12
        .value_kind:     by_value
      - .offset:         76
        .size:           12
        .value_kind:     by_value
      - .offset:         88
        .size:           12
        .value_kind:     by_value
      - .offset:         100
        .size:           12
        .value_kind:     by_value
      - .offset:         112
        .size:           12
        .value_kind:     by_value
      - .offset:         124
        .size:           12
        .value_kind:     by_value
      - .offset:         136
        .size:           4
        .value_kind:     by_value
      - .offset:         140
        .size:           4
        .value_kind:     by_value
      - .offset:         144
        .size:           4
        .value_kind:     by_value
      - .offset:         148
        .size:           4
        .value_kind:     by_value
      - .offset:         152
        .size:           4
        .value_kind:     by_value
      - .offset:         156
        .size:           4
        .value_kind:     by_value
      - .offset:         160
        .size:           4
        .value_kind:     by_value
      - .offset:         164
        .size:           4
        .value_kind:     by_value
      - .offset:         168
        .size:           4
        .value_kind:     by_value
      - .offset:         172
        .size:           4
        .value_kind:     by_value
      - .offset:         176
        .size:           4
        .value_kind:     by_value
      - .address_space:  global
        .offset:         184
        .size:           8
        .value_kind:     global_buffer
      - .address_space:  global
        .offset:         192
        .size:           8
        .value_kind:     global_buffer
      - .address_space:  global
        .offset:         200
        .size:           8
        .value_kind:     global_buffer
      - .address_space:  global
        .offset:         208
        .size:           8
        .value_kind:     global_buffer
      - .address_space:  global
        .offset:         216
        .size:           8
        .value_kind:     global_buffer
      - .address_space:  global
        .offset:         224
        .size:           8
        .value_kind:     global_buffer
      - .offset:         232
        .size:           4
        .value_kind:     hidden_block_count_x
      - .offset:         236
        .size:           4
        .value_kind:     hidden_block_count_y
      - .offset:         240
        .size:           4
        .value_kind:     hidden_block_count_z
      - .offset:         244
        .size:           2
        .value_kind:     hidden_group_size_x
      - .offset:         246
        .size:           2
        .value_kind:     hidden_group_size_y
      - .offset:         248
        .size:           2
        .value_kind:     hidden_group_size_z
      - .offset:         250
        .size:           2
        .value_kind:     hidden_remainder_x
      - .offset:         252
        .size:           2
        .value_kind:     hidden_remainder_y
      - .offset:         254
        .size:           2
        .value_kind:     hidden_remainder_z
      - .offset:         272
        .size:           8
        .value_kind:     hidden_global_offset_x
      - .offset:         280
        .size:           8
        .value_kind:     hidden_global_offset_y
      - .offset:         288
        .size:           8
        .value_kind:     hidden_global_offset_z
      - .offset:         296
        .size:           2
        .value_kind:     hidden_grid_dims
    .group_segment_fixed_size: 0
    .kernarg_segment_align: 8
    .kernarg_segment_size: 488
    .language:       OpenCL C
    .language_version:
      - 2
      - 0
    .max_flat_workgroup_size: 1024
    .name:           _ZL19k_bin_bcast_unravelIXadL_ZL6op_mulffEE6__halffS0_JPKfS2_S2_S2_S2_S2_EEvPKT0_PKT1_PT2_15HIP_vector_typeIjLj3EESC_SC_jSC_SC_SC_SC_SC_SC_iiiiiiiiiiiDpT3_
    .private_segment_fixed_size: 0
    .sgpr_count:     32
    .sgpr_spill_count: 0
    .symbol:         _ZL19k_bin_bcast_unravelIXadL_ZL6op_mulffEE6__halffS0_JPKfS2_S2_S2_S2_S2_EEvPKT0_PKT1_PT2_15HIP_vector_typeIjLj3EESC_SC_jSC_SC_SC_SC_SC_SC_iiiiiiiiiiiDpT3_.kd
    .uniform_work_group_size: 1
    .uses_dynamic_stack: false
    .vgpr_count:     15
    .vgpr_spill_count: 0
    .wavefront_size: 64
  - .args:
      - .address_space:  global
        .offset:         0
        .size:           8
        .value_kind:     global_buffer
      - .address_space:  global
        .offset:         8
        .size:           8
        .value_kind:     global_buffer
      - .address_space:  global
        .offset:         16
        .size:           8
        .value_kind:     global_buffer
      - .offset:         24
        .size:           4
        .value_kind:     by_value
      - .offset:         28
        .size:           4
        .value_kind:     by_value
      - .offset:         32
        .size:           4
        .value_kind:     by_value
      - .offset:         36
        .size:           12
        .value_kind:     by_value
      - .offset:         48
        .size:           12
        .value_kind:     by_value
      - .offset:         60
        .size:           12
        .value_kind:     by_value
      - .offset:         72
        .size:           12
        .value_kind:     by_value
      - .offset:         84
        .size:           12
        .value_kind:     by_value
      - .offset:         96
        .size:           4
        .value_kind:     by_value
      - .offset:         100
        .size:           4
        .value_kind:     by_value
      - .offset:         104
        .size:           4
        .value_kind:     by_value
      - .offset:         108
        .size:           4
        .value_kind:     by_value
      - .offset:         112
        .size:           4
        .value_kind:     by_value
      - .offset:         116
        .size:           4
        .value_kind:     by_value
      - .offset:         120
        .size:           4
        .value_kind:     by_value
      - .offset:         124
        .size:           4
        .value_kind:     by_value
      - .offset:         128
        .size:           4
        .value_kind:     by_value
      - .offset:         132
        .size:           4
        .value_kind:     by_value
      - .offset:         136
        .size:           4
        .value_kind:     by_value
      - .address_space:  global
        .offset:         144
        .size:           8
        .value_kind:     global_buffer
      - .address_space:  global
        .offset:         152
        .size:           8
        .value_kind:     global_buffer
      - .address_space:  global
        .offset:         160
        .size:           8
        .value_kind:     global_buffer
      - .address_space:  global
        .offset:         168
        .size:           8
        .value_kind:     global_buffer
      - .address_space:  global
        .offset:         176
        .size:           8
        .value_kind:     global_buffer
      - .address_space:  global
        .offset:         184
        .size:           8
        .value_kind:     global_buffer
      - .offset:         192
        .size:           4
        .value_kind:     hidden_block_count_x
      - .offset:         196
        .size:           4
        .value_kind:     hidden_block_count_y
      - .offset:         200
        .size:           4
        .value_kind:     hidden_block_count_z
      - .offset:         204
        .size:           2
        .value_kind:     hidden_group_size_x
      - .offset:         206
        .size:           2
        .value_kind:     hidden_group_size_y
      - .offset:         208
        .size:           2
        .value_kind:     hidden_group_size_z
      - .offset:         210
        .size:           2
        .value_kind:     hidden_remainder_x
      - .offset:         212
        .size:           2
        .value_kind:     hidden_remainder_y
      - .offset:         214
        .size:           2
        .value_kind:     hidden_remainder_z
      - .offset:         232
        .size:           8
        .value_kind:     hidden_global_offset_x
      - .offset:         240
        .size:           8
        .value_kind:     hidden_global_offset_y
      - .offset:         248
        .size:           8
        .value_kind:     hidden_global_offset_z
      - .offset:         256
        .size:           2
        .value_kind:     hidden_grid_dims
    .group_segment_fixed_size: 0
    .kernarg_segment_align: 8
    .kernarg_segment_size: 448
    .language:       OpenCL C
    .language_version:
      - 2
      - 0
    .max_flat_workgroup_size: 1024
    .name:           _ZL11k_bin_bcastIXadL_ZL6op_mulffEE6__halffS0_JPKfS2_S2_S2_S2_S2_EEvPKT0_PKT1_PT2_iii15HIP_vector_typeIjLj3EESC_SC_SC_SC_iiiiiiiiiiiDpT3_
    .private_segment_fixed_size: 0
    .sgpr_count:     48
    .sgpr_spill_count: 0
    .symbol:         _ZL11k_bin_bcastIXadL_ZL6op_mulffEE6__halffS0_JPKfS2_S2_S2_S2_S2_EEvPKT0_PKT1_PT2_iii15HIP_vector_typeIjLj3EESC_SC_SC_SC_iiiiiiiiiiiDpT3_.kd
    .uniform_work_group_size: 1
    .uses_dynamic_stack: false
    .vgpr_count:     33
    .vgpr_spill_count: 0
    .wavefront_size: 64
  - .args:
      - .address_space:  global
        .offset:         0
        .size:           8
        .value_kind:     global_buffer
      - .address_space:  global
        .offset:         8
        .size:           8
        .value_kind:     global_buffer
      - .address_space:  global
        .offset:         16
        .size:           8
        .value_kind:     global_buffer
      - .offset:         24
        .size:           12
        .value_kind:     by_value
      - .offset:         36
        .size:           12
        .value_kind:     by_value
      - .offset:         48
        .size:           12
        .value_kind:     by_value
      - .offset:         60
        .size:           4
        .value_kind:     by_value
      - .offset:         64
        .size:           12
        .value_kind:     by_value
      - .offset:         76
        .size:           12
        .value_kind:     by_value
      - .offset:         88
        .size:           12
        .value_kind:     by_value
      - .offset:         100
        .size:           12
        .value_kind:     by_value
      - .offset:         112
        .size:           12
        .value_kind:     by_value
      - .offset:         124
        .size:           12
        .value_kind:     by_value
      - .offset:         136
        .size:           4
        .value_kind:     by_value
      - .offset:         140
        .size:           4
        .value_kind:     by_value
      - .offset:         144
        .size:           4
        .value_kind:     by_value
      - .offset:         148
        .size:           4
        .value_kind:     by_value
      - .offset:         152
        .size:           4
        .value_kind:     by_value
      - .offset:         156
        .size:           4
        .value_kind:     by_value
      - .offset:         160
        .size:           4
        .value_kind:     by_value
      - .offset:         164
        .size:           4
        .value_kind:     by_value
      - .offset:         168
        .size:           4
        .value_kind:     by_value
      - .offset:         172
        .size:           4
        .value_kind:     by_value
      - .offset:         176
        .size:           4
        .value_kind:     by_value
      - .address_space:  global
        .offset:         184
        .size:           8
        .value_kind:     global_buffer
      - .address_space:  global
        .offset:         192
        .size:           8
        .value_kind:     global_buffer
      - .address_space:  global
        .offset:         200
        .size:           8
        .value_kind:     global_buffer
      - .address_space:  global
        .offset:         208
        .size:           8
        .value_kind:     global_buffer
      - .address_space:  global
        .offset:         216
        .size:           8
        .value_kind:     global_buffer
      - .address_space:  global
        .offset:         224
        .size:           8
        .value_kind:     global_buffer
      - .offset:         232
        .size:           4
        .value_kind:     hidden_block_count_x
      - .offset:         236
        .size:           4
        .value_kind:     hidden_block_count_y
      - .offset:         240
        .size:           4
        .value_kind:     hidden_block_count_z
      - .offset:         244
        .size:           2
        .value_kind:     hidden_group_size_x
      - .offset:         246
        .size:           2
        .value_kind:     hidden_group_size_y
      - .offset:         248
        .size:           2
        .value_kind:     hidden_group_size_z
      - .offset:         250
        .size:           2
        .value_kind:     hidden_remainder_x
      - .offset:         252
        .size:           2
        .value_kind:     hidden_remainder_y
      - .offset:         254
        .size:           2
        .value_kind:     hidden_remainder_z
      - .offset:         272
        .size:           8
        .value_kind:     hidden_global_offset_x
      - .offset:         280
        .size:           8
        .value_kind:     hidden_global_offset_y
      - .offset:         288
        .size:           8
        .value_kind:     hidden_global_offset_z
      - .offset:         296
        .size:           2
        .value_kind:     hidden_grid_dims
    .group_segment_fixed_size: 0
    .kernarg_segment_align: 8
    .kernarg_segment_size: 488
    .language:       OpenCL C
    .language_version:
      - 2
      - 0
    .max_flat_workgroup_size: 1024
    .name:           _ZL19k_bin_bcast_unravelIXadL_ZL6op_mulffEE6__halfffJPKfS2_S2_S2_S2_S2_EEvPKT0_PKT1_PT2_15HIP_vector_typeIjLj3EESC_SC_jSC_SC_SC_SC_SC_SC_iiiiiiiiiiiDpT3_
    .private_segment_fixed_size: 0
    .sgpr_count:     32
    .sgpr_spill_count: 0
    .symbol:         _ZL19k_bin_bcast_unravelIXadL_ZL6op_mulffEE6__halfffJPKfS2_S2_S2_S2_S2_EEvPKT0_PKT1_PT2_15HIP_vector_typeIjLj3EESC_SC_jSC_SC_SC_SC_SC_SC_iiiiiiiiiiiDpT3_.kd
    .uniform_work_group_size: 1
    .uses_dynamic_stack: false
    .vgpr_count:     15
    .vgpr_spill_count: 0
    .wavefront_size: 64
  - .args:
      - .address_space:  global
        .offset:         0
        .size:           8
        .value_kind:     global_buffer
      - .address_space:  global
        .offset:         8
        .size:           8
        .value_kind:     global_buffer
      - .address_space:  global
        .offset:         16
        .size:           8
        .value_kind:     global_buffer
      - .offset:         24
        .size:           4
        .value_kind:     by_value
      - .offset:         28
        .size:           4
        .value_kind:     by_value
      - .offset:         32
        .size:           4
        .value_kind:     by_value
      - .offset:         36
        .size:           12
        .value_kind:     by_value
      - .offset:         48
        .size:           12
        .value_kind:     by_value
      - .offset:         60
        .size:           12
        .value_kind:     by_value
      - .offset:         72
        .size:           12
        .value_kind:     by_value
      - .offset:         84
        .size:           12
        .value_kind:     by_value
      - .offset:         96
        .size:           4
        .value_kind:     by_value
      - .offset:         100
        .size:           4
        .value_kind:     by_value
      - .offset:         104
        .size:           4
        .value_kind:     by_value
      - .offset:         108
        .size:           4
        .value_kind:     by_value
      - .offset:         112
        .size:           4
        .value_kind:     by_value
      - .offset:         116
        .size:           4
        .value_kind:     by_value
      - .offset:         120
        .size:           4
        .value_kind:     by_value
      - .offset:         124
        .size:           4
        .value_kind:     by_value
      - .offset:         128
        .size:           4
        .value_kind:     by_value
      - .offset:         132
        .size:           4
        .value_kind:     by_value
      - .offset:         136
        .size:           4
        .value_kind:     by_value
      - .address_space:  global
        .offset:         144
        .size:           8
        .value_kind:     global_buffer
      - .address_space:  global
        .offset:         152
        .size:           8
        .value_kind:     global_buffer
      - .address_space:  global
        .offset:         160
        .size:           8
        .value_kind:     global_buffer
      - .address_space:  global
        .offset:         168
        .size:           8
        .value_kind:     global_buffer
      - .address_space:  global
        .offset:         176
        .size:           8
        .value_kind:     global_buffer
      - .address_space:  global
        .offset:         184
        .size:           8
        .value_kind:     global_buffer
      - .offset:         192
        .size:           4
        .value_kind:     hidden_block_count_x
      - .offset:         196
        .size:           4
        .value_kind:     hidden_block_count_y
      - .offset:         200
        .size:           4
        .value_kind:     hidden_block_count_z
      - .offset:         204
        .size:           2
        .value_kind:     hidden_group_size_x
      - .offset:         206
        .size:           2
        .value_kind:     hidden_group_size_y
      - .offset:         208
        .size:           2
        .value_kind:     hidden_group_size_z
      - .offset:         210
        .size:           2
        .value_kind:     hidden_remainder_x
      - .offset:         212
        .size:           2
        .value_kind:     hidden_remainder_y
      - .offset:         214
        .size:           2
        .value_kind:     hidden_remainder_z
      - .offset:         232
        .size:           8
        .value_kind:     hidden_global_offset_x
      - .offset:         240
        .size:           8
        .value_kind:     hidden_global_offset_y
      - .offset:         248
        .size:           8
        .value_kind:     hidden_global_offset_z
      - .offset:         256
        .size:           2
        .value_kind:     hidden_grid_dims
    .group_segment_fixed_size: 0
    .kernarg_segment_align: 8
    .kernarg_segment_size: 448
    .language:       OpenCL C
    .language_version:
      - 2
      - 0
    .max_flat_workgroup_size: 1024
    .name:           _ZL11k_bin_bcastIXadL_ZL6op_mulffEE6__halfffJPKfS2_S2_S2_S2_S2_EEvPKT0_PKT1_PT2_iii15HIP_vector_typeIjLj3EESC_SC_SC_SC_iiiiiiiiiiiDpT3_
    .private_segment_fixed_size: 0
    .sgpr_count:     48
    .sgpr_spill_count: 0
    .symbol:         _ZL11k_bin_bcastIXadL_ZL6op_mulffEE6__halfffJPKfS2_S2_S2_S2_S2_EEvPKT0_PKT1_PT2_iii15HIP_vector_typeIjLj3EESC_SC_SC_SC_iiiiiiiiiiiDpT3_.kd
    .uniform_work_group_size: 1
    .uses_dynamic_stack: false
    .vgpr_count:     33
    .vgpr_spill_count: 0
    .wavefront_size: 64
  - .args:
      - .address_space:  global
        .offset:         0
        .size:           8
        .value_kind:     global_buffer
      - .address_space:  global
        .offset:         8
        .size:           8
        .value_kind:     global_buffer
      - .address_space:  global
        .offset:         16
        .size:           8
        .value_kind:     global_buffer
      - .offset:         24
        .size:           12
        .value_kind:     by_value
      - .offset:         36
        .size:           12
        .value_kind:     by_value
      - .offset:         48
        .size:           12
        .value_kind:     by_value
      - .offset:         60
        .size:           4
        .value_kind:     by_value
      - .offset:         64
        .size:           12
        .value_kind:     by_value
      - .offset:         76
        .size:           12
        .value_kind:     by_value
      - .offset:         88
        .size:           12
        .value_kind:     by_value
      - .offset:         100
        .size:           12
        .value_kind:     by_value
      - .offset:         112
        .size:           12
        .value_kind:     by_value
      - .offset:         124
        .size:           12
        .value_kind:     by_value
      - .offset:         136
        .size:           4
        .value_kind:     by_value
      - .offset:         140
        .size:           4
        .value_kind:     by_value
      - .offset:         144
        .size:           4
        .value_kind:     by_value
      - .offset:         148
        .size:           4
        .value_kind:     by_value
      - .offset:         152
        .size:           4
        .value_kind:     by_value
      - .offset:         156
        .size:           4
        .value_kind:     by_value
      - .offset:         160
        .size:           4
        .value_kind:     by_value
      - .offset:         164
        .size:           4
        .value_kind:     by_value
      - .offset:         168
        .size:           4
        .value_kind:     by_value
      - .offset:         172
        .size:           4
        .value_kind:     by_value
      - .offset:         176
        .size:           4
        .value_kind:     by_value
      - .address_space:  global
        .offset:         184
        .size:           8
        .value_kind:     global_buffer
      - .address_space:  global
        .offset:         192
        .size:           8
        .value_kind:     global_buffer
      - .address_space:  global
        .offset:         200
        .size:           8
        .value_kind:     global_buffer
      - .address_space:  global
        .offset:         208
        .size:           8
        .value_kind:     global_buffer
      - .address_space:  global
        .offset:         216
        .size:           8
        .value_kind:     global_buffer
      - .address_space:  global
        .offset:         224
        .size:           8
        .value_kind:     global_buffer
      - .address_space:  global
        .offset:         232
        .size:           8
        .value_kind:     global_buffer
      - .offset:         240
        .size:           4
        .value_kind:     hidden_block_count_x
      - .offset:         244
        .size:           4
        .value_kind:     hidden_block_count_y
      - .offset:         248
        .size:           4
        .value_kind:     hidden_block_count_z
      - .offset:         252
        .size:           2
        .value_kind:     hidden_group_size_x
      - .offset:         254
        .size:           2
        .value_kind:     hidden_group_size_y
      - .offset:         256
        .size:           2
        .value_kind:     hidden_group_size_z
      - .offset:         258
        .size:           2
        .value_kind:     hidden_remainder_x
      - .offset:         260
        .size:           2
        .value_kind:     hidden_remainder_y
      - .offset:         262
        .size:           2
        .value_kind:     hidden_remainder_z
      - .offset:         280
        .size:           8
        .value_kind:     hidden_global_offset_x
      - .offset:         288
        .size:           8
        .value_kind:     hidden_global_offset_y
      - .offset:         296
        .size:           8
        .value_kind:     hidden_global_offset_z
      - .offset:         304
        .size:           2
        .value_kind:     hidden_grid_dims
    .group_segment_fixed_size: 0
    .kernarg_segment_align: 8
    .kernarg_segment_size: 496
    .language:       OpenCL C
    .language_version:
      - 2
      - 0
    .max_flat_workgroup_size: 1024
    .name:           _ZL19k_bin_bcast_unravelIXadL_ZL6op_mulffEEfffJPKfS1_S1_S1_S1_S1_S1_EEvPKT0_PKT1_PT2_15HIP_vector_typeIjLj3EESB_SB_jSB_SB_SB_SB_SB_SB_iiiiiiiiiiiDpT3_
    .private_segment_fixed_size: 0
    .sgpr_count:     32
    .sgpr_spill_count: 0
    .symbol:         _ZL19k_bin_bcast_unravelIXadL_ZL6op_mulffEEfffJPKfS1_S1_S1_S1_S1_S1_EEvPKT0_PKT1_PT2_15HIP_vector_typeIjLj3EESB_SB_jSB_SB_SB_SB_SB_SB_iiiiiiiiiiiDpT3_.kd
    .uniform_work_group_size: 1
    .uses_dynamic_stack: false
    .vgpr_count:     16
    .vgpr_spill_count: 0
    .wavefront_size: 64
  - .args:
      - .address_space:  global
        .offset:         0
        .size:           8
        .value_kind:     global_buffer
      - .address_space:  global
        .offset:         8
        .size:           8
        .value_kind:     global_buffer
      - .address_space:  global
        .offset:         16
        .size:           8
        .value_kind:     global_buffer
      - .offset:         24
        .size:           4
        .value_kind:     by_value
      - .offset:         28
        .size:           4
        .value_kind:     by_value
      - .offset:         32
        .size:           4
        .value_kind:     by_value
      - .offset:         36
        .size:           12
        .value_kind:     by_value
      - .offset:         48
        .size:           12
        .value_kind:     by_value
      - .offset:         60
        .size:           12
        .value_kind:     by_value
      - .offset:         72
        .size:           12
        .value_kind:     by_value
      - .offset:         84
        .size:           12
        .value_kind:     by_value
      - .offset:         96
        .size:           4
        .value_kind:     by_value
      - .offset:         100
        .size:           4
        .value_kind:     by_value
      - .offset:         104
        .size:           4
        .value_kind:     by_value
      - .offset:         108
        .size:           4
        .value_kind:     by_value
      - .offset:         112
        .size:           4
        .value_kind:     by_value
      - .offset:         116
        .size:           4
        .value_kind:     by_value
      - .offset:         120
        .size:           4
        .value_kind:     by_value
      - .offset:         124
        .size:           4
        .value_kind:     by_value
      - .offset:         128
        .size:           4
        .value_kind:     by_value
      - .offset:         132
        .size:           4
        .value_kind:     by_value
      - .offset:         136
        .size:           4
        .value_kind:     by_value
      - .address_space:  global
        .offset:         144
        .size:           8
        .value_kind:     global_buffer
      - .address_space:  global
        .offset:         152
        .size:           8
        .value_kind:     global_buffer
      - .address_space:  global
        .offset:         160
        .size:           8
        .value_kind:     global_buffer
      - .address_space:  global
        .offset:         168
        .size:           8
        .value_kind:     global_buffer
      - .address_space:  global
        .offset:         176
        .size:           8
        .value_kind:     global_buffer
      - .address_space:  global
        .offset:         184
        .size:           8
        .value_kind:     global_buffer
      - .address_space:  global
        .offset:         192
        .size:           8
        .value_kind:     global_buffer
      - .offset:         200
        .size:           4
        .value_kind:     hidden_block_count_x
      - .offset:         204
        .size:           4
        .value_kind:     hidden_block_count_y
      - .offset:         208
        .size:           4
        .value_kind:     hidden_block_count_z
      - .offset:         212
        .size:           2
        .value_kind:     hidden_group_size_x
      - .offset:         214
        .size:           2
        .value_kind:     hidden_group_size_y
      - .offset:         216
        .size:           2
        .value_kind:     hidden_group_size_z
      - .offset:         218
        .size:           2
        .value_kind:     hidden_remainder_x
      - .offset:         220
        .size:           2
        .value_kind:     hidden_remainder_y
      - .offset:         222
        .size:           2
        .value_kind:     hidden_remainder_z
      - .offset:         240
        .size:           8
        .value_kind:     hidden_global_offset_x
      - .offset:         248
        .size:           8
        .value_kind:     hidden_global_offset_y
      - .offset:         256
        .size:           8
        .value_kind:     hidden_global_offset_z
      - .offset:         264
        .size:           2
        .value_kind:     hidden_grid_dims
    .group_segment_fixed_size: 0
    .kernarg_segment_align: 8
    .kernarg_segment_size: 456
    .language:       OpenCL C
    .language_version:
      - 2
      - 0
    .max_flat_workgroup_size: 1024
    .name:           _ZL11k_bin_bcastIXadL_ZL6op_mulffEEfffJPKfS1_S1_S1_S1_S1_S1_EEvPKT0_PKT1_PT2_iii15HIP_vector_typeIjLj3EESB_SB_SB_SB_iiiiiiiiiiiDpT3_
    .private_segment_fixed_size: 0
    .sgpr_count:     56
    .sgpr_spill_count: 0
    .symbol:         _ZL11k_bin_bcastIXadL_ZL6op_mulffEEfffJPKfS1_S1_S1_S1_S1_S1_EEvPKT0_PKT1_PT2_iii15HIP_vector_typeIjLj3EESB_SB_SB_SB_iiiiiiiiiiiDpT3_.kd
    .uniform_work_group_size: 1
    .uses_dynamic_stack: false
    .vgpr_count:     33
    .vgpr_spill_count: 0
    .wavefront_size: 64
  - .args:
      - .address_space:  global
        .offset:         0
        .size:           8
        .value_kind:     global_buffer
      - .address_space:  global
        .offset:         8
        .size:           8
        .value_kind:     global_buffer
      - .address_space:  global
        .offset:         16
        .size:           8
        .value_kind:     global_buffer
      - .offset:         24
        .size:           12
        .value_kind:     by_value
      - .offset:         36
        .size:           12
        .value_kind:     by_value
      - .offset:         48
        .size:           12
        .value_kind:     by_value
      - .offset:         60
        .size:           4
        .value_kind:     by_value
      - .offset:         64
        .size:           12
        .value_kind:     by_value
      - .offset:         76
        .size:           12
        .value_kind:     by_value
      - .offset:         88
        .size:           12
        .value_kind:     by_value
      - .offset:         100
        .size:           12
        .value_kind:     by_value
      - .offset:         112
        .size:           12
        .value_kind:     by_value
      - .offset:         124
        .size:           12
        .value_kind:     by_value
      - .offset:         136
        .size:           4
        .value_kind:     by_value
      - .offset:         140
        .size:           4
        .value_kind:     by_value
      - .offset:         144
        .size:           4
        .value_kind:     by_value
      - .offset:         148
        .size:           4
        .value_kind:     by_value
      - .offset:         152
        .size:           4
        .value_kind:     by_value
      - .offset:         156
        .size:           4
        .value_kind:     by_value
      - .offset:         160
        .size:           4
        .value_kind:     by_value
      - .offset:         164
        .size:           4
        .value_kind:     by_value
      - .offset:         168
        .size:           4
        .value_kind:     by_value
      - .offset:         172
        .size:           4
        .value_kind:     by_value
      - .offset:         176
        .size:           4
        .value_kind:     by_value
      - .address_space:  global
        .offset:         184
        .size:           8
        .value_kind:     global_buffer
      - .address_space:  global
        .offset:         192
        .size:           8
        .value_kind:     global_buffer
      - .address_space:  global
        .offset:         200
        .size:           8
        .value_kind:     global_buffer
      - .address_space:  global
        .offset:         208
        .size:           8
        .value_kind:     global_buffer
      - .address_space:  global
        .offset:         216
        .size:           8
        .value_kind:     global_buffer
      - .address_space:  global
        .offset:         224
        .size:           8
        .value_kind:     global_buffer
      - .address_space:  global
        .offset:         232
        .size:           8
        .value_kind:     global_buffer
      - .offset:         240
        .size:           4
        .value_kind:     hidden_block_count_x
      - .offset:         244
        .size:           4
        .value_kind:     hidden_block_count_y
      - .offset:         248
        .size:           4
        .value_kind:     hidden_block_count_z
      - .offset:         252
        .size:           2
        .value_kind:     hidden_group_size_x
      - .offset:         254
        .size:           2
        .value_kind:     hidden_group_size_y
      - .offset:         256
        .size:           2
        .value_kind:     hidden_group_size_z
      - .offset:         258
        .size:           2
        .value_kind:     hidden_remainder_x
      - .offset:         260
        .size:           2
        .value_kind:     hidden_remainder_y
      - .offset:         262
        .size:           2
        .value_kind:     hidden_remainder_z
      - .offset:         280
        .size:           8
        .value_kind:     hidden_global_offset_x
      - .offset:         288
        .size:           8
        .value_kind:     hidden_global_offset_y
      - .offset:         296
        .size:           8
        .value_kind:     hidden_global_offset_z
      - .offset:         304
        .size:           2
        .value_kind:     hidden_grid_dims
    .group_segment_fixed_size: 0
    .kernarg_segment_align: 8
    .kernarg_segment_size: 496
    .language:       OpenCL C
    .language_version:
      - 2
      - 0
    .max_flat_workgroup_size: 1024
    .name:           _ZL19k_bin_bcast_unravelIXadL_ZL6op_mulffEE6__halfS0_S0_JPKS0_S2_S2_S2_S2_S2_S2_EEvPKT0_PKT1_PT2_15HIP_vector_typeIjLj3EESC_SC_jSC_SC_SC_SC_SC_SC_iiiiiiiiiiiDpT3_
    .private_segment_fixed_size: 0
    .sgpr_count:     32
    .sgpr_spill_count: 0
    .symbol:         _ZL19k_bin_bcast_unravelIXadL_ZL6op_mulffEE6__halfS0_S0_JPKS0_S2_S2_S2_S2_S2_S2_EEvPKT0_PKT1_PT2_15HIP_vector_typeIjLj3EESC_SC_jSC_SC_SC_SC_SC_SC_iiiiiiiiiiiDpT3_.kd
    .uniform_work_group_size: 1
    .uses_dynamic_stack: false
    .vgpr_count:     16
    .vgpr_spill_count: 0
    .wavefront_size: 64
  - .args:
      - .address_space:  global
        .offset:         0
        .size:           8
        .value_kind:     global_buffer
      - .address_space:  global
        .offset:         8
        .size:           8
        .value_kind:     global_buffer
      - .address_space:  global
        .offset:         16
        .size:           8
        .value_kind:     global_buffer
      - .offset:         24
        .size:           4
        .value_kind:     by_value
      - .offset:         28
        .size:           4
        .value_kind:     by_value
      - .offset:         32
        .size:           4
        .value_kind:     by_value
      - .offset:         36
        .size:           12
        .value_kind:     by_value
      - .offset:         48
        .size:           12
        .value_kind:     by_value
      - .offset:         60
        .size:           12
        .value_kind:     by_value
      - .offset:         72
        .size:           12
        .value_kind:     by_value
      - .offset:         84
        .size:           12
        .value_kind:     by_value
      - .offset:         96
        .size:           4
        .value_kind:     by_value
      - .offset:         100
        .size:           4
        .value_kind:     by_value
      - .offset:         104
        .size:           4
        .value_kind:     by_value
      - .offset:         108
        .size:           4
        .value_kind:     by_value
      - .offset:         112
        .size:           4
        .value_kind:     by_value
      - .offset:         116
        .size:           4
        .value_kind:     by_value
      - .offset:         120
        .size:           4
        .value_kind:     by_value
      - .offset:         124
        .size:           4
        .value_kind:     by_value
      - .offset:         128
        .size:           4
        .value_kind:     by_value
      - .offset:         132
        .size:           4
        .value_kind:     by_value
      - .offset:         136
        .size:           4
        .value_kind:     by_value
      - .address_space:  global
        .offset:         144
        .size:           8
        .value_kind:     global_buffer
      - .address_space:  global
        .offset:         152
        .size:           8
        .value_kind:     global_buffer
      - .address_space:  global
        .offset:         160
        .size:           8
        .value_kind:     global_buffer
      - .address_space:  global
        .offset:         168
        .size:           8
        .value_kind:     global_buffer
      - .address_space:  global
        .offset:         176
        .size:           8
        .value_kind:     global_buffer
      - .address_space:  global
        .offset:         184
        .size:           8
        .value_kind:     global_buffer
      - .address_space:  global
        .offset:         192
        .size:           8
        .value_kind:     global_buffer
      - .offset:         200
        .size:           4
        .value_kind:     hidden_block_count_x
      - .offset:         204
        .size:           4
        .value_kind:     hidden_block_count_y
      - .offset:         208
        .size:           4
        .value_kind:     hidden_block_count_z
      - .offset:         212
        .size:           2
        .value_kind:     hidden_group_size_x
      - .offset:         214
        .size:           2
        .value_kind:     hidden_group_size_y
      - .offset:         216
        .size:           2
        .value_kind:     hidden_group_size_z
      - .offset:         218
        .size:           2
        .value_kind:     hidden_remainder_x
      - .offset:         220
        .size:           2
        .value_kind:     hidden_remainder_y
      - .offset:         222
        .size:           2
        .value_kind:     hidden_remainder_z
      - .offset:         240
        .size:           8
        .value_kind:     hidden_global_offset_x
      - .offset:         248
        .size:           8
        .value_kind:     hidden_global_offset_y
      - .offset:         256
        .size:           8
        .value_kind:     hidden_global_offset_z
      - .offset:         264
        .size:           2
        .value_kind:     hidden_grid_dims
    .group_segment_fixed_size: 0
    .kernarg_segment_align: 8
    .kernarg_segment_size: 456
    .language:       OpenCL C
    .language_version:
      - 2
      - 0
    .max_flat_workgroup_size: 1024
    .name:           _ZL11k_bin_bcastIXadL_ZL6op_mulffEE6__halfS0_S0_JPKS0_S2_S2_S2_S2_S2_S2_EEvPKT0_PKT1_PT2_iii15HIP_vector_typeIjLj3EESC_SC_SC_SC_iiiiiiiiiiiDpT3_
    .private_segment_fixed_size: 0
    .sgpr_count:     56
    .sgpr_spill_count: 0
    .symbol:         _ZL11k_bin_bcastIXadL_ZL6op_mulffEE6__halfS0_S0_JPKS0_S2_S2_S2_S2_S2_S2_EEvPKT0_PKT1_PT2_iii15HIP_vector_typeIjLj3EESC_SC_SC_SC_iiiiiiiiiiiDpT3_.kd
    .uniform_work_group_size: 1
    .uses_dynamic_stack: false
    .vgpr_count:     33
    .vgpr_spill_count: 0
    .wavefront_size: 64
  - .args:
      - .address_space:  global
        .offset:         0
        .size:           8
        .value_kind:     global_buffer
      - .address_space:  global
        .offset:         8
        .size:           8
        .value_kind:     global_buffer
      - .address_space:  global
        .offset:         16
        .size:           8
        .value_kind:     global_buffer
      - .offset:         24
        .size:           12
        .value_kind:     by_value
      - .offset:         36
        .size:           12
        .value_kind:     by_value
      - .offset:         48
        .size:           12
        .value_kind:     by_value
      - .offset:         60
        .size:           4
        .value_kind:     by_value
      - .offset:         64
        .size:           12
        .value_kind:     by_value
      - .offset:         76
        .size:           12
        .value_kind:     by_value
      - .offset:         88
        .size:           12
        .value_kind:     by_value
      - .offset:         100
        .size:           12
        .value_kind:     by_value
      - .offset:         112
        .size:           12
        .value_kind:     by_value
      - .offset:         124
        .size:           12
        .value_kind:     by_value
      - .offset:         136
        .size:           4
        .value_kind:     by_value
      - .offset:         140
        .size:           4
        .value_kind:     by_value
      - .offset:         144
        .size:           4
        .value_kind:     by_value
      - .offset:         148
        .size:           4
        .value_kind:     by_value
      - .offset:         152
        .size:           4
        .value_kind:     by_value
      - .offset:         156
        .size:           4
        .value_kind:     by_value
      - .offset:         160
        .size:           4
        .value_kind:     by_value
      - .offset:         164
        .size:           4
        .value_kind:     by_value
      - .offset:         168
        .size:           4
        .value_kind:     by_value
      - .offset:         172
        .size:           4
        .value_kind:     by_value
      - .offset:         176
        .size:           4
        .value_kind:     by_value
      - .address_space:  global
        .offset:         184
        .size:           8
        .value_kind:     global_buffer
      - .address_space:  global
        .offset:         192
        .size:           8
        .value_kind:     global_buffer
      - .address_space:  global
        .offset:         200
        .size:           8
        .value_kind:     global_buffer
      - .address_space:  global
        .offset:         208
        .size:           8
        .value_kind:     global_buffer
      - .address_space:  global
        .offset:         216
        .size:           8
        .value_kind:     global_buffer
      - .address_space:  global
        .offset:         224
        .size:           8
        .value_kind:     global_buffer
      - .address_space:  global
        .offset:         232
        .size:           8
        .value_kind:     global_buffer
      - .offset:         240
        .size:           4
        .value_kind:     hidden_block_count_x
      - .offset:         244
        .size:           4
        .value_kind:     hidden_block_count_y
      - .offset:         248
        .size:           4
        .value_kind:     hidden_block_count_z
      - .offset:         252
        .size:           2
        .value_kind:     hidden_group_size_x
      - .offset:         254
        .size:           2
        .value_kind:     hidden_group_size_y
      - .offset:         256
        .size:           2
        .value_kind:     hidden_group_size_z
      - .offset:         258
        .size:           2
        .value_kind:     hidden_remainder_x
      - .offset:         260
        .size:           2
        .value_kind:     hidden_remainder_y
      - .offset:         262
        .size:           2
        .value_kind:     hidden_remainder_z
      - .offset:         280
        .size:           8
        .value_kind:     hidden_global_offset_x
      - .offset:         288
        .size:           8
        .value_kind:     hidden_global_offset_y
      - .offset:         296
        .size:           8
        .value_kind:     hidden_global_offset_z
      - .offset:         304
        .size:           2
        .value_kind:     hidden_grid_dims
    .group_segment_fixed_size: 0
    .kernarg_segment_align: 8
    .kernarg_segment_size: 496
    .language:       OpenCL C
    .language_version:
      - 2
      - 0
    .max_flat_workgroup_size: 1024
    .name:           _ZL19k_bin_bcast_unravelIXadL_ZL6op_mulffEE6__halffS0_JPKfS2_S2_S2_S2_S2_S2_EEvPKT0_PKT1_PT2_15HIP_vector_typeIjLj3EESC_SC_jSC_SC_SC_SC_SC_SC_iiiiiiiiiiiDpT3_
    .private_segment_fixed_size: 0
    .sgpr_count:     32
    .sgpr_spill_count: 0
    .symbol:         _ZL19k_bin_bcast_unravelIXadL_ZL6op_mulffEE6__halffS0_JPKfS2_S2_S2_S2_S2_S2_EEvPKT0_PKT1_PT2_15HIP_vector_typeIjLj3EESC_SC_jSC_SC_SC_SC_SC_SC_iiiiiiiiiiiDpT3_.kd
    .uniform_work_group_size: 1
    .uses_dynamic_stack: false
    .vgpr_count:     16
    .vgpr_spill_count: 0
    .wavefront_size: 64
  - .args:
      - .address_space:  global
        .offset:         0
        .size:           8
        .value_kind:     global_buffer
      - .address_space:  global
        .offset:         8
        .size:           8
        .value_kind:     global_buffer
      - .address_space:  global
        .offset:         16
        .size:           8
        .value_kind:     global_buffer
      - .offset:         24
        .size:           4
        .value_kind:     by_value
      - .offset:         28
        .size:           4
        .value_kind:     by_value
      - .offset:         32
        .size:           4
        .value_kind:     by_value
      - .offset:         36
        .size:           12
        .value_kind:     by_value
      - .offset:         48
        .size:           12
        .value_kind:     by_value
      - .offset:         60
        .size:           12
        .value_kind:     by_value
      - .offset:         72
        .size:           12
        .value_kind:     by_value
      - .offset:         84
        .size:           12
        .value_kind:     by_value
      - .offset:         96
        .size:           4
        .value_kind:     by_value
      - .offset:         100
        .size:           4
        .value_kind:     by_value
      - .offset:         104
        .size:           4
        .value_kind:     by_value
      - .offset:         108
        .size:           4
        .value_kind:     by_value
      - .offset:         112
        .size:           4
        .value_kind:     by_value
      - .offset:         116
        .size:           4
        .value_kind:     by_value
      - .offset:         120
        .size:           4
        .value_kind:     by_value
      - .offset:         124
        .size:           4
        .value_kind:     by_value
      - .offset:         128
        .size:           4
        .value_kind:     by_value
      - .offset:         132
        .size:           4
        .value_kind:     by_value
      - .offset:         136
        .size:           4
        .value_kind:     by_value
      - .address_space:  global
        .offset:         144
        .size:           8
        .value_kind:     global_buffer
      - .address_space:  global
        .offset:         152
        .size:           8
        .value_kind:     global_buffer
      - .address_space:  global
        .offset:         160
        .size:           8
        .value_kind:     global_buffer
      - .address_space:  global
        .offset:         168
        .size:           8
        .value_kind:     global_buffer
      - .address_space:  global
        .offset:         176
        .size:           8
        .value_kind:     global_buffer
      - .address_space:  global
        .offset:         184
        .size:           8
        .value_kind:     global_buffer
      - .address_space:  global
        .offset:         192
        .size:           8
        .value_kind:     global_buffer
      - .offset:         200
        .size:           4
        .value_kind:     hidden_block_count_x
      - .offset:         204
        .size:           4
        .value_kind:     hidden_block_count_y
      - .offset:         208
        .size:           4
        .value_kind:     hidden_block_count_z
      - .offset:         212
        .size:           2
        .value_kind:     hidden_group_size_x
      - .offset:         214
        .size:           2
        .value_kind:     hidden_group_size_y
      - .offset:         216
        .size:           2
        .value_kind:     hidden_group_size_z
      - .offset:         218
        .size:           2
        .value_kind:     hidden_remainder_x
      - .offset:         220
        .size:           2
        .value_kind:     hidden_remainder_y
      - .offset:         222
        .size:           2
        .value_kind:     hidden_remainder_z
      - .offset:         240
        .size:           8
        .value_kind:     hidden_global_offset_x
      - .offset:         248
        .size:           8
        .value_kind:     hidden_global_offset_y
      - .offset:         256
        .size:           8
        .value_kind:     hidden_global_offset_z
      - .offset:         264
        .size:           2
        .value_kind:     hidden_grid_dims
    .group_segment_fixed_size: 0
    .kernarg_segment_align: 8
    .kernarg_segment_size: 456
    .language:       OpenCL C
    .language_version:
      - 2
      - 0
    .max_flat_workgroup_size: 1024
    .name:           _ZL11k_bin_bcastIXadL_ZL6op_mulffEE6__halffS0_JPKfS2_S2_S2_S2_S2_S2_EEvPKT0_PKT1_PT2_iii15HIP_vector_typeIjLj3EESC_SC_SC_SC_iiiiiiiiiiiDpT3_
    .private_segment_fixed_size: 0
    .sgpr_count:     56
    .sgpr_spill_count: 0
    .symbol:         _ZL11k_bin_bcastIXadL_ZL6op_mulffEE6__halffS0_JPKfS2_S2_S2_S2_S2_S2_EEvPKT0_PKT1_PT2_iii15HIP_vector_typeIjLj3EESC_SC_SC_SC_iiiiiiiiiiiDpT3_.kd
    .uniform_work_group_size: 1
    .uses_dynamic_stack: false
    .vgpr_count:     33
    .vgpr_spill_count: 0
    .wavefront_size: 64
  - .args:
      - .address_space:  global
        .offset:         0
        .size:           8
        .value_kind:     global_buffer
      - .address_space:  global
        .offset:         8
        .size:           8
        .value_kind:     global_buffer
      - .address_space:  global
        .offset:         16
        .size:           8
        .value_kind:     global_buffer
      - .offset:         24
        .size:           12
        .value_kind:     by_value
      - .offset:         36
        .size:           12
        .value_kind:     by_value
      - .offset:         48
        .size:           12
        .value_kind:     by_value
      - .offset:         60
        .size:           4
        .value_kind:     by_value
      - .offset:         64
        .size:           12
        .value_kind:     by_value
      - .offset:         76
        .size:           12
        .value_kind:     by_value
      - .offset:         88
        .size:           12
        .value_kind:     by_value
      - .offset:         100
        .size:           12
        .value_kind:     by_value
      - .offset:         112
        .size:           12
        .value_kind:     by_value
      - .offset:         124
        .size:           12
        .value_kind:     by_value
      - .offset:         136
        .size:           4
        .value_kind:     by_value
      - .offset:         140
        .size:           4
        .value_kind:     by_value
      - .offset:         144
        .size:           4
        .value_kind:     by_value
      - .offset:         148
        .size:           4
        .value_kind:     by_value
      - .offset:         152
        .size:           4
        .value_kind:     by_value
      - .offset:         156
        .size:           4
        .value_kind:     by_value
      - .offset:         160
        .size:           4
        .value_kind:     by_value
      - .offset:         164
        .size:           4
        .value_kind:     by_value
      - .offset:         168
        .size:           4
        .value_kind:     by_value
      - .offset:         172
        .size:           4
        .value_kind:     by_value
      - .offset:         176
        .size:           4
        .value_kind:     by_value
      - .address_space:  global
        .offset:         184
        .size:           8
        .value_kind:     global_buffer
      - .address_space:  global
        .offset:         192
        .size:           8
        .value_kind:     global_buffer
      - .address_space:  global
        .offset:         200
        .size:           8
        .value_kind:     global_buffer
      - .address_space:  global
        .offset:         208
        .size:           8
        .value_kind:     global_buffer
      - .address_space:  global
        .offset:         216
        .size:           8
        .value_kind:     global_buffer
      - .address_space:  global
        .offset:         224
        .size:           8
        .value_kind:     global_buffer
      - .address_space:  global
        .offset:         232
        .size:           8
        .value_kind:     global_buffer
      - .offset:         240
        .size:           4
        .value_kind:     hidden_block_count_x
      - .offset:         244
        .size:           4
        .value_kind:     hidden_block_count_y
      - .offset:         248
        .size:           4
        .value_kind:     hidden_block_count_z
      - .offset:         252
        .size:           2
        .value_kind:     hidden_group_size_x
      - .offset:         254
        .size:           2
        .value_kind:     hidden_group_size_y
      - .offset:         256
        .size:           2
        .value_kind:     hidden_group_size_z
      - .offset:         258
        .size:           2
        .value_kind:     hidden_remainder_x
      - .offset:         260
        .size:           2
        .value_kind:     hidden_remainder_y
      - .offset:         262
        .size:           2
        .value_kind:     hidden_remainder_z
      - .offset:         280
        .size:           8
        .value_kind:     hidden_global_offset_x
      - .offset:         288
        .size:           8
        .value_kind:     hidden_global_offset_y
      - .offset:         296
        .size:           8
        .value_kind:     hidden_global_offset_z
      - .offset:         304
        .size:           2
        .value_kind:     hidden_grid_dims
    .group_segment_fixed_size: 0
    .kernarg_segment_align: 8
    .kernarg_segment_size: 496
    .language:       OpenCL C
    .language_version:
      - 2
      - 0
    .max_flat_workgroup_size: 1024
    .name:           _ZL19k_bin_bcast_unravelIXadL_ZL6op_mulffEE6__halfffJPKfS2_S2_S2_S2_S2_S2_EEvPKT0_PKT1_PT2_15HIP_vector_typeIjLj3EESC_SC_jSC_SC_SC_SC_SC_SC_iiiiiiiiiiiDpT3_
    .private_segment_fixed_size: 0
    .sgpr_count:     32
    .sgpr_spill_count: 0
    .symbol:         _ZL19k_bin_bcast_unravelIXadL_ZL6op_mulffEE6__halfffJPKfS2_S2_S2_S2_S2_S2_EEvPKT0_PKT1_PT2_15HIP_vector_typeIjLj3EESC_SC_jSC_SC_SC_SC_SC_SC_iiiiiiiiiiiDpT3_.kd
    .uniform_work_group_size: 1
    .uses_dynamic_stack: false
    .vgpr_count:     16
    .vgpr_spill_count: 0
    .wavefront_size: 64
  - .args:
      - .address_space:  global
        .offset:         0
        .size:           8
        .value_kind:     global_buffer
      - .address_space:  global
        .offset:         8
        .size:           8
        .value_kind:     global_buffer
      - .address_space:  global
        .offset:         16
        .size:           8
        .value_kind:     global_buffer
      - .offset:         24
        .size:           4
        .value_kind:     by_value
      - .offset:         28
        .size:           4
        .value_kind:     by_value
      - .offset:         32
        .size:           4
        .value_kind:     by_value
      - .offset:         36
        .size:           12
        .value_kind:     by_value
      - .offset:         48
        .size:           12
        .value_kind:     by_value
      - .offset:         60
        .size:           12
        .value_kind:     by_value
      - .offset:         72
        .size:           12
        .value_kind:     by_value
      - .offset:         84
        .size:           12
        .value_kind:     by_value
      - .offset:         96
        .size:           4
        .value_kind:     by_value
      - .offset:         100
        .size:           4
        .value_kind:     by_value
      - .offset:         104
        .size:           4
        .value_kind:     by_value
      - .offset:         108
        .size:           4
        .value_kind:     by_value
      - .offset:         112
        .size:           4
        .value_kind:     by_value
      - .offset:         116
        .size:           4
        .value_kind:     by_value
      - .offset:         120
        .size:           4
        .value_kind:     by_value
      - .offset:         124
        .size:           4
        .value_kind:     by_value
      - .offset:         128
        .size:           4
        .value_kind:     by_value
      - .offset:         132
        .size:           4
        .value_kind:     by_value
      - .offset:         136
        .size:           4
        .value_kind:     by_value
      - .address_space:  global
        .offset:         144
        .size:           8
        .value_kind:     global_buffer
      - .address_space:  global
        .offset:         152
        .size:           8
        .value_kind:     global_buffer
      - .address_space:  global
        .offset:         160
        .size:           8
        .value_kind:     global_buffer
      - .address_space:  global
        .offset:         168
        .size:           8
        .value_kind:     global_buffer
      - .address_space:  global
        .offset:         176
        .size:           8
        .value_kind:     global_buffer
      - .address_space:  global
        .offset:         184
        .size:           8
        .value_kind:     global_buffer
      - .address_space:  global
        .offset:         192
        .size:           8
        .value_kind:     global_buffer
      - .offset:         200
        .size:           4
        .value_kind:     hidden_block_count_x
      - .offset:         204
        .size:           4
        .value_kind:     hidden_block_count_y
      - .offset:         208
        .size:           4
        .value_kind:     hidden_block_count_z
      - .offset:         212
        .size:           2
        .value_kind:     hidden_group_size_x
      - .offset:         214
        .size:           2
        .value_kind:     hidden_group_size_y
      - .offset:         216
        .size:           2
        .value_kind:     hidden_group_size_z
      - .offset:         218
        .size:           2
        .value_kind:     hidden_remainder_x
      - .offset:         220
        .size:           2
        .value_kind:     hidden_remainder_y
      - .offset:         222
        .size:           2
        .value_kind:     hidden_remainder_z
      - .offset:         240
        .size:           8
        .value_kind:     hidden_global_offset_x
      - .offset:         248
        .size:           8
        .value_kind:     hidden_global_offset_y
      - .offset:         256
        .size:           8
        .value_kind:     hidden_global_offset_z
      - .offset:         264
        .size:           2
        .value_kind:     hidden_grid_dims
    .group_segment_fixed_size: 0
    .kernarg_segment_align: 8
    .kernarg_segment_size: 456
    .language:       OpenCL C
    .language_version:
      - 2
      - 0
    .max_flat_workgroup_size: 1024
    .name:           _ZL11k_bin_bcastIXadL_ZL6op_mulffEE6__halfffJPKfS2_S2_S2_S2_S2_S2_EEvPKT0_PKT1_PT2_iii15HIP_vector_typeIjLj3EESC_SC_SC_SC_iiiiiiiiiiiDpT3_
    .private_segment_fixed_size: 0
    .sgpr_count:     56
    .sgpr_spill_count: 0
    .symbol:         _ZL11k_bin_bcastIXadL_ZL6op_mulffEE6__halfffJPKfS2_S2_S2_S2_S2_S2_EEvPKT0_PKT1_PT2_iii15HIP_vector_typeIjLj3EESC_SC_SC_SC_iiiiiiiiiiiDpT3_.kd
    .uniform_work_group_size: 1
    .uses_dynamic_stack: false
    .vgpr_count:     33
    .vgpr_spill_count: 0
    .wavefront_size: 64
  - .args:
      - .address_space:  global
        .offset:         0
        .size:           8
        .value_kind:     global_buffer
      - .address_space:  global
        .offset:         8
        .size:           8
        .value_kind:     global_buffer
      - .address_space:  global
        .offset:         16
        .size:           8
        .value_kind:     global_buffer
      - .offset:         24
        .size:           12
        .value_kind:     by_value
      - .offset:         36
        .size:           12
        .value_kind:     by_value
      - .offset:         48
        .size:           12
        .value_kind:     by_value
      - .offset:         60
        .size:           4
        .value_kind:     by_value
      - .offset:         64
        .size:           12
        .value_kind:     by_value
      - .offset:         76
        .size:           12
        .value_kind:     by_value
      - .offset:         88
        .size:           12
        .value_kind:     by_value
      - .offset:         100
        .size:           12
        .value_kind:     by_value
      - .offset:         112
        .size:           12
        .value_kind:     by_value
      - .offset:         124
        .size:           12
        .value_kind:     by_value
      - .offset:         136
        .size:           4
        .value_kind:     by_value
      - .offset:         140
        .size:           4
        .value_kind:     by_value
      - .offset:         144
        .size:           4
        .value_kind:     by_value
      - .offset:         148
        .size:           4
        .value_kind:     by_value
      - .offset:         152
        .size:           4
        .value_kind:     by_value
      - .offset:         156
        .size:           4
        .value_kind:     by_value
      - .offset:         160
        .size:           4
        .value_kind:     by_value
      - .offset:         164
        .size:           4
        .value_kind:     by_value
      - .offset:         168
        .size:           4
        .value_kind:     by_value
      - .offset:         172
        .size:           4
        .value_kind:     by_value
      - .offset:         176
        .size:           4
        .value_kind:     by_value
      - .address_space:  global
        .offset:         184
        .size:           8
        .value_kind:     global_buffer
      - .address_space:  global
        .offset:         192
        .size:           8
        .value_kind:     global_buffer
      - .address_space:  global
        .offset:         200
        .size:           8
        .value_kind:     global_buffer
      - .address_space:  global
        .offset:         208
        .size:           8
        .value_kind:     global_buffer
      - .address_space:  global
        .offset:         216
        .size:           8
        .value_kind:     global_buffer
      - .address_space:  global
        .offset:         224
        .size:           8
        .value_kind:     global_buffer
      - .address_space:  global
        .offset:         232
        .size:           8
        .value_kind:     global_buffer
      - .address_space:  global
        .offset:         240
        .size:           8
        .value_kind:     global_buffer
      - .offset:         248
        .size:           4
        .value_kind:     hidden_block_count_x
      - .offset:         252
        .size:           4
        .value_kind:     hidden_block_count_y
      - .offset:         256
        .size:           4
        .value_kind:     hidden_block_count_z
      - .offset:         260
        .size:           2
        .value_kind:     hidden_group_size_x
      - .offset:         262
        .size:           2
        .value_kind:     hidden_group_size_y
      - .offset:         264
        .size:           2
        .value_kind:     hidden_group_size_z
      - .offset:         266
        .size:           2
        .value_kind:     hidden_remainder_x
      - .offset:         268
        .size:           2
        .value_kind:     hidden_remainder_y
      - .offset:         270
        .size:           2
        .value_kind:     hidden_remainder_z
      - .offset:         288
        .size:           8
        .value_kind:     hidden_global_offset_x
      - .offset:         296
        .size:           8
        .value_kind:     hidden_global_offset_y
      - .offset:         304
        .size:           8
        .value_kind:     hidden_global_offset_z
      - .offset:         312
        .size:           2
        .value_kind:     hidden_grid_dims
    .group_segment_fixed_size: 0
    .kernarg_segment_align: 8
    .kernarg_segment_size: 504
    .language:       OpenCL C
    .language_version:
      - 2
      - 0
    .max_flat_workgroup_size: 1024
    .name:           _ZL19k_bin_bcast_unravelIXadL_ZL6op_mulffEEfffJPKfS1_S1_S1_S1_S1_S1_S1_EEvPKT0_PKT1_PT2_15HIP_vector_typeIjLj3EESB_SB_jSB_SB_SB_SB_SB_SB_iiiiiiiiiiiDpT3_
    .private_segment_fixed_size: 0
    .sgpr_count:     36
    .sgpr_spill_count: 0
    .symbol:         _ZL19k_bin_bcast_unravelIXadL_ZL6op_mulffEEfffJPKfS1_S1_S1_S1_S1_S1_S1_EEvPKT0_PKT1_PT2_15HIP_vector_typeIjLj3EESB_SB_jSB_SB_SB_SB_SB_SB_iiiiiiiiiiiDpT3_.kd
    .uniform_work_group_size: 1
    .uses_dynamic_stack: false
    .vgpr_count:     17
    .vgpr_spill_count: 0
    .wavefront_size: 64
  - .args:
      - .address_space:  global
        .offset:         0
        .size:           8
        .value_kind:     global_buffer
      - .address_space:  global
        .offset:         8
        .size:           8
        .value_kind:     global_buffer
      - .address_space:  global
        .offset:         16
        .size:           8
        .value_kind:     global_buffer
      - .offset:         24
        .size:           4
        .value_kind:     by_value
      - .offset:         28
        .size:           4
        .value_kind:     by_value
      - .offset:         32
        .size:           4
        .value_kind:     by_value
      - .offset:         36
        .size:           12
        .value_kind:     by_value
      - .offset:         48
        .size:           12
        .value_kind:     by_value
      - .offset:         60
        .size:           12
        .value_kind:     by_value
      - .offset:         72
        .size:           12
        .value_kind:     by_value
      - .offset:         84
        .size:           12
        .value_kind:     by_value
      - .offset:         96
        .size:           4
        .value_kind:     by_value
      - .offset:         100
        .size:           4
        .value_kind:     by_value
      - .offset:         104
        .size:           4
        .value_kind:     by_value
      - .offset:         108
        .size:           4
        .value_kind:     by_value
      - .offset:         112
        .size:           4
        .value_kind:     by_value
      - .offset:         116
        .size:           4
        .value_kind:     by_value
      - .offset:         120
        .size:           4
        .value_kind:     by_value
      - .offset:         124
        .size:           4
        .value_kind:     by_value
      - .offset:         128
        .size:           4
        .value_kind:     by_value
      - .offset:         132
        .size:           4
        .value_kind:     by_value
      - .offset:         136
        .size:           4
        .value_kind:     by_value
      - .address_space:  global
        .offset:         144
        .size:           8
        .value_kind:     global_buffer
      - .address_space:  global
        .offset:         152
        .size:           8
        .value_kind:     global_buffer
      - .address_space:  global
        .offset:         160
        .size:           8
        .value_kind:     global_buffer
      - .address_space:  global
        .offset:         168
        .size:           8
        .value_kind:     global_buffer
      - .address_space:  global
        .offset:         176
        .size:           8
        .value_kind:     global_buffer
      - .address_space:  global
        .offset:         184
        .size:           8
        .value_kind:     global_buffer
      - .address_space:  global
        .offset:         192
        .size:           8
        .value_kind:     global_buffer
      - .address_space:  global
        .offset:         200
        .size:           8
        .value_kind:     global_buffer
      - .offset:         208
        .size:           4
        .value_kind:     hidden_block_count_x
      - .offset:         212
        .size:           4
        .value_kind:     hidden_block_count_y
      - .offset:         216
        .size:           4
        .value_kind:     hidden_block_count_z
      - .offset:         220
        .size:           2
        .value_kind:     hidden_group_size_x
      - .offset:         222
        .size:           2
        .value_kind:     hidden_group_size_y
      - .offset:         224
        .size:           2
        .value_kind:     hidden_group_size_z
      - .offset:         226
        .size:           2
        .value_kind:     hidden_remainder_x
      - .offset:         228
        .size:           2
        .value_kind:     hidden_remainder_y
      - .offset:         230
        .size:           2
        .value_kind:     hidden_remainder_z
      - .offset:         248
        .size:           8
        .value_kind:     hidden_global_offset_x
      - .offset:         256
        .size:           8
        .value_kind:     hidden_global_offset_y
      - .offset:         264
        .size:           8
        .value_kind:     hidden_global_offset_z
      - .offset:         272
        .size:           2
        .value_kind:     hidden_grid_dims
    .group_segment_fixed_size: 0
    .kernarg_segment_align: 8
    .kernarg_segment_size: 464
    .language:       OpenCL C
    .language_version:
      - 2
      - 0
    .max_flat_workgroup_size: 1024
    .name:           _ZL11k_bin_bcastIXadL_ZL6op_mulffEEfffJPKfS1_S1_S1_S1_S1_S1_S1_EEvPKT0_PKT1_PT2_iii15HIP_vector_typeIjLj3EESB_SB_SB_SB_iiiiiiiiiiiDpT3_
    .private_segment_fixed_size: 0
    .sgpr_count:     48
    .sgpr_spill_count: 0
    .symbol:         _ZL11k_bin_bcastIXadL_ZL6op_mulffEEfffJPKfS1_S1_S1_S1_S1_S1_S1_EEvPKT0_PKT1_PT2_iii15HIP_vector_typeIjLj3EESB_SB_SB_SB_iiiiiiiiiiiDpT3_.kd
    .uniform_work_group_size: 1
    .uses_dynamic_stack: false
    .vgpr_count:     33
    .vgpr_spill_count: 0
    .wavefront_size: 64
  - .args:
      - .address_space:  global
        .offset:         0
        .size:           8
        .value_kind:     global_buffer
      - .address_space:  global
        .offset:         8
        .size:           8
        .value_kind:     global_buffer
      - .address_space:  global
        .offset:         16
        .size:           8
        .value_kind:     global_buffer
      - .offset:         24
        .size:           12
        .value_kind:     by_value
      - .offset:         36
        .size:           12
        .value_kind:     by_value
      - .offset:         48
        .size:           12
        .value_kind:     by_value
      - .offset:         60
        .size:           4
        .value_kind:     by_value
      - .offset:         64
        .size:           12
        .value_kind:     by_value
      - .offset:         76
        .size:           12
        .value_kind:     by_value
      - .offset:         88
        .size:           12
        .value_kind:     by_value
      - .offset:         100
        .size:           12
        .value_kind:     by_value
      - .offset:         112
        .size:           12
        .value_kind:     by_value
      - .offset:         124
        .size:           12
        .value_kind:     by_value
      - .offset:         136
        .size:           4
        .value_kind:     by_value
      - .offset:         140
        .size:           4
        .value_kind:     by_value
      - .offset:         144
        .size:           4
        .value_kind:     by_value
      - .offset:         148
        .size:           4
        .value_kind:     by_value
      - .offset:         152
        .size:           4
        .value_kind:     by_value
      - .offset:         156
        .size:           4
        .value_kind:     by_value
      - .offset:         160
        .size:           4
        .value_kind:     by_value
      - .offset:         164
        .size:           4
        .value_kind:     by_value
      - .offset:         168
        .size:           4
        .value_kind:     by_value
      - .offset:         172
        .size:           4
        .value_kind:     by_value
      - .offset:         176
        .size:           4
        .value_kind:     by_value
      - .address_space:  global
        .offset:         184
        .size:           8
        .value_kind:     global_buffer
      - .address_space:  global
        .offset:         192
        .size:           8
        .value_kind:     global_buffer
      - .address_space:  global
        .offset:         200
        .size:           8
        .value_kind:     global_buffer
      - .address_space:  global
        .offset:         208
        .size:           8
        .value_kind:     global_buffer
      - .address_space:  global
        .offset:         216
        .size:           8
        .value_kind:     global_buffer
      - .address_space:  global
        .offset:         224
        .size:           8
        .value_kind:     global_buffer
      - .address_space:  global
        .offset:         232
        .size:           8
        .value_kind:     global_buffer
      - .address_space:  global
        .offset:         240
        .size:           8
        .value_kind:     global_buffer
      - .offset:         248
        .size:           4
        .value_kind:     hidden_block_count_x
      - .offset:         252
        .size:           4
        .value_kind:     hidden_block_count_y
      - .offset:         256
        .size:           4
        .value_kind:     hidden_block_count_z
      - .offset:         260
        .size:           2
        .value_kind:     hidden_group_size_x
      - .offset:         262
        .size:           2
        .value_kind:     hidden_group_size_y
      - .offset:         264
        .size:           2
        .value_kind:     hidden_group_size_z
      - .offset:         266
        .size:           2
        .value_kind:     hidden_remainder_x
      - .offset:         268
        .size:           2
        .value_kind:     hidden_remainder_y
      - .offset:         270
        .size:           2
        .value_kind:     hidden_remainder_z
      - .offset:         288
        .size:           8
        .value_kind:     hidden_global_offset_x
      - .offset:         296
        .size:           8
        .value_kind:     hidden_global_offset_y
      - .offset:         304
        .size:           8
        .value_kind:     hidden_global_offset_z
      - .offset:         312
        .size:           2
        .value_kind:     hidden_grid_dims
    .group_segment_fixed_size: 0
    .kernarg_segment_align: 8
    .kernarg_segment_size: 504
    .language:       OpenCL C
    .language_version:
      - 2
      - 0
    .max_flat_workgroup_size: 1024
    .name:           _ZL19k_bin_bcast_unravelIXadL_ZL6op_mulffEE6__halfS0_S0_JPKS0_S2_S2_S2_S2_S2_S2_S2_EEvPKT0_PKT1_PT2_15HIP_vector_typeIjLj3EESC_SC_jSC_SC_SC_SC_SC_SC_iiiiiiiiiiiDpT3_
    .private_segment_fixed_size: 0
    .sgpr_count:     36
    .sgpr_spill_count: 0
    .symbol:         _ZL19k_bin_bcast_unravelIXadL_ZL6op_mulffEE6__halfS0_S0_JPKS0_S2_S2_S2_S2_S2_S2_S2_EEvPKT0_PKT1_PT2_15HIP_vector_typeIjLj3EESC_SC_jSC_SC_SC_SC_SC_SC_iiiiiiiiiiiDpT3_.kd
    .uniform_work_group_size: 1
    .uses_dynamic_stack: false
    .vgpr_count:     17
    .vgpr_spill_count: 0
    .wavefront_size: 64
  - .args:
      - .address_space:  global
        .offset:         0
        .size:           8
        .value_kind:     global_buffer
      - .address_space:  global
        .offset:         8
        .size:           8
        .value_kind:     global_buffer
      - .address_space:  global
        .offset:         16
        .size:           8
        .value_kind:     global_buffer
      - .offset:         24
        .size:           4
        .value_kind:     by_value
      - .offset:         28
        .size:           4
        .value_kind:     by_value
      - .offset:         32
        .size:           4
        .value_kind:     by_value
      - .offset:         36
        .size:           12
        .value_kind:     by_value
      - .offset:         48
        .size:           12
        .value_kind:     by_value
      - .offset:         60
        .size:           12
        .value_kind:     by_value
      - .offset:         72
        .size:           12
        .value_kind:     by_value
      - .offset:         84
        .size:           12
        .value_kind:     by_value
      - .offset:         96
        .size:           4
        .value_kind:     by_value
      - .offset:         100
        .size:           4
        .value_kind:     by_value
      - .offset:         104
        .size:           4
        .value_kind:     by_value
      - .offset:         108
        .size:           4
        .value_kind:     by_value
      - .offset:         112
        .size:           4
        .value_kind:     by_value
      - .offset:         116
        .size:           4
        .value_kind:     by_value
      - .offset:         120
        .size:           4
        .value_kind:     by_value
      - .offset:         124
        .size:           4
        .value_kind:     by_value
      - .offset:         128
        .size:           4
        .value_kind:     by_value
      - .offset:         132
        .size:           4
        .value_kind:     by_value
      - .offset:         136
        .size:           4
        .value_kind:     by_value
      - .address_space:  global
        .offset:         144
        .size:           8
        .value_kind:     global_buffer
      - .address_space:  global
        .offset:         152
        .size:           8
        .value_kind:     global_buffer
      - .address_space:  global
        .offset:         160
        .size:           8
        .value_kind:     global_buffer
      - .address_space:  global
        .offset:         168
        .size:           8
        .value_kind:     global_buffer
      - .address_space:  global
        .offset:         176
        .size:           8
        .value_kind:     global_buffer
      - .address_space:  global
        .offset:         184
        .size:           8
        .value_kind:     global_buffer
      - .address_space:  global
        .offset:         192
        .size:           8
        .value_kind:     global_buffer
      - .address_space:  global
        .offset:         200
        .size:           8
        .value_kind:     global_buffer
      - .offset:         208
        .size:           4
        .value_kind:     hidden_block_count_x
      - .offset:         212
        .size:           4
        .value_kind:     hidden_block_count_y
      - .offset:         216
        .size:           4
        .value_kind:     hidden_block_count_z
      - .offset:         220
        .size:           2
        .value_kind:     hidden_group_size_x
      - .offset:         222
        .size:           2
        .value_kind:     hidden_group_size_y
      - .offset:         224
        .size:           2
        .value_kind:     hidden_group_size_z
      - .offset:         226
        .size:           2
        .value_kind:     hidden_remainder_x
      - .offset:         228
        .size:           2
        .value_kind:     hidden_remainder_y
      - .offset:         230
        .size:           2
        .value_kind:     hidden_remainder_z
      - .offset:         248
        .size:           8
        .value_kind:     hidden_global_offset_x
      - .offset:         256
        .size:           8
        .value_kind:     hidden_global_offset_y
      - .offset:         264
        .size:           8
        .value_kind:     hidden_global_offset_z
      - .offset:         272
        .size:           2
        .value_kind:     hidden_grid_dims
    .group_segment_fixed_size: 0
    .kernarg_segment_align: 8
    .kernarg_segment_size: 464
    .language:       OpenCL C
    .language_version:
      - 2
      - 0
    .max_flat_workgroup_size: 1024
    .name:           _ZL11k_bin_bcastIXadL_ZL6op_mulffEE6__halfS0_S0_JPKS0_S2_S2_S2_S2_S2_S2_S2_EEvPKT0_PKT1_PT2_iii15HIP_vector_typeIjLj3EESC_SC_SC_SC_iiiiiiiiiiiDpT3_
    .private_segment_fixed_size: 0
    .sgpr_count:     48
    .sgpr_spill_count: 0
    .symbol:         _ZL11k_bin_bcastIXadL_ZL6op_mulffEE6__halfS0_S0_JPKS0_S2_S2_S2_S2_S2_S2_S2_EEvPKT0_PKT1_PT2_iii15HIP_vector_typeIjLj3EESC_SC_SC_SC_iiiiiiiiiiiDpT3_.kd
    .uniform_work_group_size: 1
    .uses_dynamic_stack: false
    .vgpr_count:     33
    .vgpr_spill_count: 0
    .wavefront_size: 64
  - .args:
      - .address_space:  global
        .offset:         0
        .size:           8
        .value_kind:     global_buffer
      - .address_space:  global
        .offset:         8
        .size:           8
        .value_kind:     global_buffer
      - .address_space:  global
        .offset:         16
        .size:           8
        .value_kind:     global_buffer
      - .offset:         24
        .size:           12
        .value_kind:     by_value
      - .offset:         36
        .size:           12
        .value_kind:     by_value
      - .offset:         48
        .size:           12
        .value_kind:     by_value
      - .offset:         60
        .size:           4
        .value_kind:     by_value
      - .offset:         64
        .size:           12
        .value_kind:     by_value
      - .offset:         76
        .size:           12
        .value_kind:     by_value
      - .offset:         88
        .size:           12
        .value_kind:     by_value
      - .offset:         100
        .size:           12
        .value_kind:     by_value
      - .offset:         112
        .size:           12
        .value_kind:     by_value
      - .offset:         124
        .size:           12
        .value_kind:     by_value
      - .offset:         136
        .size:           4
        .value_kind:     by_value
      - .offset:         140
        .size:           4
        .value_kind:     by_value
      - .offset:         144
        .size:           4
        .value_kind:     by_value
      - .offset:         148
        .size:           4
        .value_kind:     by_value
      - .offset:         152
        .size:           4
        .value_kind:     by_value
      - .offset:         156
        .size:           4
        .value_kind:     by_value
      - .offset:         160
        .size:           4
        .value_kind:     by_value
      - .offset:         164
        .size:           4
        .value_kind:     by_value
      - .offset:         168
        .size:           4
        .value_kind:     by_value
      - .offset:         172
        .size:           4
        .value_kind:     by_value
      - .offset:         176
        .size:           4
        .value_kind:     by_value
      - .address_space:  global
        .offset:         184
        .size:           8
        .value_kind:     global_buffer
      - .address_space:  global
        .offset:         192
        .size:           8
        .value_kind:     global_buffer
      - .address_space:  global
        .offset:         200
        .size:           8
        .value_kind:     global_buffer
      - .address_space:  global
        .offset:         208
        .size:           8
        .value_kind:     global_buffer
      - .address_space:  global
        .offset:         216
        .size:           8
        .value_kind:     global_buffer
      - .address_space:  global
        .offset:         224
        .size:           8
        .value_kind:     global_buffer
      - .address_space:  global
        .offset:         232
        .size:           8
        .value_kind:     global_buffer
      - .address_space:  global
        .offset:         240
        .size:           8
        .value_kind:     global_buffer
      - .offset:         248
        .size:           4
        .value_kind:     hidden_block_count_x
      - .offset:         252
        .size:           4
        .value_kind:     hidden_block_count_y
      - .offset:         256
        .size:           4
        .value_kind:     hidden_block_count_z
      - .offset:         260
        .size:           2
        .value_kind:     hidden_group_size_x
      - .offset:         262
        .size:           2
        .value_kind:     hidden_group_size_y
      - .offset:         264
        .size:           2
        .value_kind:     hidden_group_size_z
      - .offset:         266
        .size:           2
        .value_kind:     hidden_remainder_x
      - .offset:         268
        .size:           2
        .value_kind:     hidden_remainder_y
      - .offset:         270
        .size:           2
        .value_kind:     hidden_remainder_z
      - .offset:         288
        .size:           8
        .value_kind:     hidden_global_offset_x
      - .offset:         296
        .size:           8
        .value_kind:     hidden_global_offset_y
      - .offset:         304
        .size:           8
        .value_kind:     hidden_global_offset_z
      - .offset:         312
        .size:           2
        .value_kind:     hidden_grid_dims
    .group_segment_fixed_size: 0
    .kernarg_segment_align: 8
    .kernarg_segment_size: 504
    .language:       OpenCL C
    .language_version:
      - 2
      - 0
    .max_flat_workgroup_size: 1024
    .name:           _ZL19k_bin_bcast_unravelIXadL_ZL6op_mulffEE6__halffS0_JPKfS2_S2_S2_S2_S2_S2_S2_EEvPKT0_PKT1_PT2_15HIP_vector_typeIjLj3EESC_SC_jSC_SC_SC_SC_SC_SC_iiiiiiiiiiiDpT3_
    .private_segment_fixed_size: 0
    .sgpr_count:     36
    .sgpr_spill_count: 0
    .symbol:         _ZL19k_bin_bcast_unravelIXadL_ZL6op_mulffEE6__halffS0_JPKfS2_S2_S2_S2_S2_S2_S2_EEvPKT0_PKT1_PT2_15HIP_vector_typeIjLj3EESC_SC_jSC_SC_SC_SC_SC_SC_iiiiiiiiiiiDpT3_.kd
    .uniform_work_group_size: 1
    .uses_dynamic_stack: false
    .vgpr_count:     17
    .vgpr_spill_count: 0
    .wavefront_size: 64
  - .args:
      - .address_space:  global
        .offset:         0
        .size:           8
        .value_kind:     global_buffer
      - .address_space:  global
        .offset:         8
        .size:           8
        .value_kind:     global_buffer
      - .address_space:  global
        .offset:         16
        .size:           8
        .value_kind:     global_buffer
      - .offset:         24
        .size:           4
        .value_kind:     by_value
      - .offset:         28
        .size:           4
        .value_kind:     by_value
      - .offset:         32
        .size:           4
        .value_kind:     by_value
      - .offset:         36
        .size:           12
        .value_kind:     by_value
      - .offset:         48
        .size:           12
        .value_kind:     by_value
      - .offset:         60
        .size:           12
        .value_kind:     by_value
      - .offset:         72
        .size:           12
        .value_kind:     by_value
      - .offset:         84
        .size:           12
        .value_kind:     by_value
      - .offset:         96
        .size:           4
        .value_kind:     by_value
      - .offset:         100
        .size:           4
        .value_kind:     by_value
      - .offset:         104
        .size:           4
        .value_kind:     by_value
      - .offset:         108
        .size:           4
        .value_kind:     by_value
      - .offset:         112
        .size:           4
        .value_kind:     by_value
      - .offset:         116
        .size:           4
        .value_kind:     by_value
      - .offset:         120
        .size:           4
        .value_kind:     by_value
      - .offset:         124
        .size:           4
        .value_kind:     by_value
      - .offset:         128
        .size:           4
        .value_kind:     by_value
      - .offset:         132
        .size:           4
        .value_kind:     by_value
      - .offset:         136
        .size:           4
        .value_kind:     by_value
      - .address_space:  global
        .offset:         144
        .size:           8
        .value_kind:     global_buffer
      - .address_space:  global
        .offset:         152
        .size:           8
        .value_kind:     global_buffer
      - .address_space:  global
        .offset:         160
        .size:           8
        .value_kind:     global_buffer
      - .address_space:  global
        .offset:         168
        .size:           8
        .value_kind:     global_buffer
      - .address_space:  global
        .offset:         176
        .size:           8
        .value_kind:     global_buffer
      - .address_space:  global
        .offset:         184
        .size:           8
        .value_kind:     global_buffer
      - .address_space:  global
        .offset:         192
        .size:           8
        .value_kind:     global_buffer
      - .address_space:  global
        .offset:         200
        .size:           8
        .value_kind:     global_buffer
      - .offset:         208
        .size:           4
        .value_kind:     hidden_block_count_x
      - .offset:         212
        .size:           4
        .value_kind:     hidden_block_count_y
      - .offset:         216
        .size:           4
        .value_kind:     hidden_block_count_z
      - .offset:         220
        .size:           2
        .value_kind:     hidden_group_size_x
      - .offset:         222
        .size:           2
        .value_kind:     hidden_group_size_y
      - .offset:         224
        .size:           2
        .value_kind:     hidden_group_size_z
      - .offset:         226
        .size:           2
        .value_kind:     hidden_remainder_x
      - .offset:         228
        .size:           2
        .value_kind:     hidden_remainder_y
      - .offset:         230
        .size:           2
        .value_kind:     hidden_remainder_z
      - .offset:         248
        .size:           8
        .value_kind:     hidden_global_offset_x
      - .offset:         256
        .size:           8
        .value_kind:     hidden_global_offset_y
      - .offset:         264
        .size:           8
        .value_kind:     hidden_global_offset_z
      - .offset:         272
        .size:           2
        .value_kind:     hidden_grid_dims
    .group_segment_fixed_size: 0
    .kernarg_segment_align: 8
    .kernarg_segment_size: 464
    .language:       OpenCL C
    .language_version:
      - 2
      - 0
    .max_flat_workgroup_size: 1024
    .name:           _ZL11k_bin_bcastIXadL_ZL6op_mulffEE6__halffS0_JPKfS2_S2_S2_S2_S2_S2_S2_EEvPKT0_PKT1_PT2_iii15HIP_vector_typeIjLj3EESC_SC_SC_SC_iiiiiiiiiiiDpT3_
    .private_segment_fixed_size: 0
    .sgpr_count:     48
    .sgpr_spill_count: 0
    .symbol:         _ZL11k_bin_bcastIXadL_ZL6op_mulffEE6__halffS0_JPKfS2_S2_S2_S2_S2_S2_S2_EEvPKT0_PKT1_PT2_iii15HIP_vector_typeIjLj3EESC_SC_SC_SC_iiiiiiiiiiiDpT3_.kd
    .uniform_work_group_size: 1
    .uses_dynamic_stack: false
    .vgpr_count:     33
    .vgpr_spill_count: 0
    .wavefront_size: 64
  - .args:
      - .address_space:  global
        .offset:         0
        .size:           8
        .value_kind:     global_buffer
      - .address_space:  global
        .offset:         8
        .size:           8
        .value_kind:     global_buffer
      - .address_space:  global
        .offset:         16
        .size:           8
        .value_kind:     global_buffer
      - .offset:         24
        .size:           12
        .value_kind:     by_value
      - .offset:         36
        .size:           12
        .value_kind:     by_value
      - .offset:         48
        .size:           12
        .value_kind:     by_value
      - .offset:         60
        .size:           4
        .value_kind:     by_value
      - .offset:         64
        .size:           12
        .value_kind:     by_value
      - .offset:         76
        .size:           12
        .value_kind:     by_value
      - .offset:         88
        .size:           12
        .value_kind:     by_value
      - .offset:         100
        .size:           12
        .value_kind:     by_value
      - .offset:         112
        .size:           12
        .value_kind:     by_value
      - .offset:         124
        .size:           12
        .value_kind:     by_value
      - .offset:         136
        .size:           4
        .value_kind:     by_value
      - .offset:         140
        .size:           4
        .value_kind:     by_value
      - .offset:         144
        .size:           4
        .value_kind:     by_value
      - .offset:         148
        .size:           4
        .value_kind:     by_value
      - .offset:         152
        .size:           4
        .value_kind:     by_value
      - .offset:         156
        .size:           4
        .value_kind:     by_value
      - .offset:         160
        .size:           4
        .value_kind:     by_value
      - .offset:         164
        .size:           4
        .value_kind:     by_value
      - .offset:         168
        .size:           4
        .value_kind:     by_value
      - .offset:         172
        .size:           4
        .value_kind:     by_value
      - .offset:         176
        .size:           4
        .value_kind:     by_value
      - .address_space:  global
        .offset:         184
        .size:           8
        .value_kind:     global_buffer
      - .address_space:  global
        .offset:         192
        .size:           8
        .value_kind:     global_buffer
      - .address_space:  global
        .offset:         200
        .size:           8
        .value_kind:     global_buffer
      - .address_space:  global
        .offset:         208
        .size:           8
        .value_kind:     global_buffer
      - .address_space:  global
        .offset:         216
        .size:           8
        .value_kind:     global_buffer
      - .address_space:  global
        .offset:         224
        .size:           8
        .value_kind:     global_buffer
      - .address_space:  global
        .offset:         232
        .size:           8
        .value_kind:     global_buffer
      - .address_space:  global
        .offset:         240
        .size:           8
        .value_kind:     global_buffer
      - .offset:         248
        .size:           4
        .value_kind:     hidden_block_count_x
      - .offset:         252
        .size:           4
        .value_kind:     hidden_block_count_y
      - .offset:         256
        .size:           4
        .value_kind:     hidden_block_count_z
      - .offset:         260
        .size:           2
        .value_kind:     hidden_group_size_x
      - .offset:         262
        .size:           2
        .value_kind:     hidden_group_size_y
      - .offset:         264
        .size:           2
        .value_kind:     hidden_group_size_z
      - .offset:         266
        .size:           2
        .value_kind:     hidden_remainder_x
      - .offset:         268
        .size:           2
        .value_kind:     hidden_remainder_y
      - .offset:         270
        .size:           2
        .value_kind:     hidden_remainder_z
      - .offset:         288
        .size:           8
        .value_kind:     hidden_global_offset_x
      - .offset:         296
        .size:           8
        .value_kind:     hidden_global_offset_y
      - .offset:         304
        .size:           8
        .value_kind:     hidden_global_offset_z
      - .offset:         312
        .size:           2
        .value_kind:     hidden_grid_dims
    .group_segment_fixed_size: 0
    .kernarg_segment_align: 8
    .kernarg_segment_size: 504
    .language:       OpenCL C
    .language_version:
      - 2
      - 0
    .max_flat_workgroup_size: 1024
    .name:           _ZL19k_bin_bcast_unravelIXadL_ZL6op_mulffEE6__halfffJPKfS2_S2_S2_S2_S2_S2_S2_EEvPKT0_PKT1_PT2_15HIP_vector_typeIjLj3EESC_SC_jSC_SC_SC_SC_SC_SC_iiiiiiiiiiiDpT3_
    .private_segment_fixed_size: 0
    .sgpr_count:     36
    .sgpr_spill_count: 0
    .symbol:         _ZL19k_bin_bcast_unravelIXadL_ZL6op_mulffEE6__halfffJPKfS2_S2_S2_S2_S2_S2_S2_EEvPKT0_PKT1_PT2_15HIP_vector_typeIjLj3EESC_SC_jSC_SC_SC_SC_SC_SC_iiiiiiiiiiiDpT3_.kd
    .uniform_work_group_size: 1
    .uses_dynamic_stack: false
    .vgpr_count:     17
    .vgpr_spill_count: 0
    .wavefront_size: 64
  - .args:
      - .address_space:  global
        .offset:         0
        .size:           8
        .value_kind:     global_buffer
      - .address_space:  global
        .offset:         8
        .size:           8
        .value_kind:     global_buffer
      - .address_space:  global
        .offset:         16
        .size:           8
        .value_kind:     global_buffer
      - .offset:         24
        .size:           4
        .value_kind:     by_value
      - .offset:         28
        .size:           4
        .value_kind:     by_value
      - .offset:         32
        .size:           4
        .value_kind:     by_value
      - .offset:         36
        .size:           12
        .value_kind:     by_value
      - .offset:         48
        .size:           12
        .value_kind:     by_value
      - .offset:         60
        .size:           12
        .value_kind:     by_value
      - .offset:         72
        .size:           12
        .value_kind:     by_value
      - .offset:         84
        .size:           12
        .value_kind:     by_value
      - .offset:         96
        .size:           4
        .value_kind:     by_value
      - .offset:         100
        .size:           4
        .value_kind:     by_value
      - .offset:         104
        .size:           4
        .value_kind:     by_value
      - .offset:         108
        .size:           4
        .value_kind:     by_value
      - .offset:         112
        .size:           4
        .value_kind:     by_value
      - .offset:         116
        .size:           4
        .value_kind:     by_value
      - .offset:         120
        .size:           4
        .value_kind:     by_value
      - .offset:         124
        .size:           4
        .value_kind:     by_value
      - .offset:         128
        .size:           4
        .value_kind:     by_value
      - .offset:         132
        .size:           4
        .value_kind:     by_value
      - .offset:         136
        .size:           4
        .value_kind:     by_value
      - .address_space:  global
        .offset:         144
        .size:           8
        .value_kind:     global_buffer
      - .address_space:  global
        .offset:         152
        .size:           8
        .value_kind:     global_buffer
      - .address_space:  global
        .offset:         160
        .size:           8
        .value_kind:     global_buffer
      - .address_space:  global
        .offset:         168
        .size:           8
        .value_kind:     global_buffer
      - .address_space:  global
        .offset:         176
        .size:           8
        .value_kind:     global_buffer
      - .address_space:  global
        .offset:         184
        .size:           8
        .value_kind:     global_buffer
      - .address_space:  global
        .offset:         192
        .size:           8
        .value_kind:     global_buffer
      - .address_space:  global
        .offset:         200
        .size:           8
        .value_kind:     global_buffer
      - .offset:         208
        .size:           4
        .value_kind:     hidden_block_count_x
      - .offset:         212
        .size:           4
        .value_kind:     hidden_block_count_y
      - .offset:         216
        .size:           4
        .value_kind:     hidden_block_count_z
      - .offset:         220
        .size:           2
        .value_kind:     hidden_group_size_x
      - .offset:         222
        .size:           2
        .value_kind:     hidden_group_size_y
      - .offset:         224
        .size:           2
        .value_kind:     hidden_group_size_z
      - .offset:         226
        .size:           2
        .value_kind:     hidden_remainder_x
      - .offset:         228
        .size:           2
        .value_kind:     hidden_remainder_y
      - .offset:         230
        .size:           2
        .value_kind:     hidden_remainder_z
      - .offset:         248
        .size:           8
        .value_kind:     hidden_global_offset_x
      - .offset:         256
        .size:           8
        .value_kind:     hidden_global_offset_y
      - .offset:         264
        .size:           8
        .value_kind:     hidden_global_offset_z
      - .offset:         272
        .size:           2
        .value_kind:     hidden_grid_dims
    .group_segment_fixed_size: 0
    .kernarg_segment_align: 8
    .kernarg_segment_size: 464
    .language:       OpenCL C
    .language_version:
      - 2
      - 0
    .max_flat_workgroup_size: 1024
    .name:           _ZL11k_bin_bcastIXadL_ZL6op_mulffEE6__halfffJPKfS2_S2_S2_S2_S2_S2_S2_EEvPKT0_PKT1_PT2_iii15HIP_vector_typeIjLj3EESC_SC_SC_SC_iiiiiiiiiiiDpT3_
    .private_segment_fixed_size: 0
    .sgpr_count:     48
    .sgpr_spill_count: 0
    .symbol:         _ZL11k_bin_bcastIXadL_ZL6op_mulffEE6__halfffJPKfS2_S2_S2_S2_S2_S2_S2_EEvPKT0_PKT1_PT2_iii15HIP_vector_typeIjLj3EESC_SC_SC_SC_iiiiiiiiiiiDpT3_.kd
    .uniform_work_group_size: 1
    .uses_dynamic_stack: false
    .vgpr_count:     33
    .vgpr_spill_count: 0
    .wavefront_size: 64
  - .args:
      - .actual_access:  read_only
        .address_space:  global
        .offset:         0
        .size:           8
        .value_kind:     global_buffer
      - .actual_access:  write_only
        .address_space:  global
        .offset:         8
        .size:           8
        .value_kind:     global_buffer
      - .offset:         16
        .size:           8
        .value_kind:     by_value
      - .offset:         24
        .size:           8
        .value_kind:     by_value
      - .offset:         32
        .size:           8
        .value_kind:     by_value
      - .offset:         40
        .size:           8
        .value_kind:     by_value
      - .offset:         48
        .size:           8
        .value_kind:     by_value
      - .offset:         56
        .size:           8
        .value_kind:     by_value
      - .offset:         64
        .size:           8
        .value_kind:     by_value
      - .offset:         72
        .size:           8
        .value_kind:     by_value
      - .offset:         80
        .size:           8
        .value_kind:     by_value
      - .offset:         88
        .size:           8
        .value_kind:     by_value
      - .offset:         96
        .size:           8
        .value_kind:     by_value
      - .offset:         104
        .size:           8
        .value_kind:     by_value
      - .offset:         112
        .size:           4
        .value_kind:     hidden_block_count_x
      - .offset:         116
        .size:           4
        .value_kind:     hidden_block_count_y
      - .offset:         120
        .size:           4
        .value_kind:     hidden_block_count_z
      - .offset:         124
        .size:           2
        .value_kind:     hidden_group_size_x
      - .offset:         126
        .size:           2
        .value_kind:     hidden_group_size_y
      - .offset:         128
        .size:           2
        .value_kind:     hidden_group_size_z
      - .offset:         130
        .size:           2
        .value_kind:     hidden_remainder_x
      - .offset:         132
        .size:           2
        .value_kind:     hidden_remainder_y
      - .offset:         134
        .size:           2
        .value_kind:     hidden_remainder_z
      - .offset:         152
        .size:           8
        .value_kind:     hidden_global_offset_x
      - .offset:         160
        .size:           8
        .value_kind:     hidden_global_offset_y
      - .offset:         168
        .size:           8
        .value_kind:     hidden_global_offset_z
      - .offset:         176
        .size:           2
        .value_kind:     hidden_grid_dims
    .group_segment_fixed_size: 0
    .kernarg_segment_align: 8
    .kernarg_segment_size: 368
    .language:       OpenCL C
    .language_version:
      - 2
      - 0
    .max_flat_workgroup_size: 1024
    .name:           _ZL13k_repeat_backIfEvPKT_PS0_llllmmmmllll
    .private_segment_fixed_size: 0
    .sgpr_count:     56
    .sgpr_spill_count: 0
    .symbol:         _ZL13k_repeat_backIfEvPKT_PS0_llllmmmmllll.kd
    .uniform_work_group_size: 1
    .uses_dynamic_stack: false
    .vgpr_count:     28
    .vgpr_spill_count: 0
    .wavefront_size: 64
amdhsa.target:   amdgcn-amd-amdhsa--gfx906
amdhsa.version:
  - 1
  - 2
...

	.end_amdgpu_metadata
